;; amdgpu-corpus repo=ROCm/rocFFT kind=compiled arch=gfx950 opt=O3
	.text
	.amdgcn_target "amdgcn-amd-amdhsa--gfx950"
	.amdhsa_code_object_version 6
	.protected	bluestein_single_back_len520_dim1_sp_op_CI_CI ; -- Begin function bluestein_single_back_len520_dim1_sp_op_CI_CI
	.globl	bluestein_single_back_len520_dim1_sp_op_CI_CI
	.p2align	8
	.type	bluestein_single_back_len520_dim1_sp_op_CI_CI,@function
bluestein_single_back_len520_dim1_sp_op_CI_CI: ; @bluestein_single_back_len520_dim1_sp_op_CI_CI
; %bb.0:
	s_load_dwordx4 s[4:7], s[0:1], 0x28
	v_mul_u32_u24_e32 v1, 0x4ed, v0
	v_add_u32_sdwa v58, s2, v1 dst_sel:DWORD dst_unused:UNUSED_PAD src0_sel:DWORD src1_sel:WORD_1
	v_mov_b32_e32 v59, 0
	s_waitcnt lgkmcnt(0)
	v_cmp_gt_u64_e32 vcc, s[4:5], v[58:59]
	s_and_saveexec_b64 s[2:3], vcc
	s_cbranch_execz .LBB0_23
; %bb.1:
	s_load_dwordx2 s[12:13], s[0:1], 0x0
	s_load_dwordx2 s[14:15], s[0:1], 0x38
	v_mov_b32_e32 v2, 52
	v_mul_lo_u16_sdwa v1, v1, v2 dst_sel:DWORD dst_unused:UNUSED_PAD src0_sel:WORD_1 src1_sel:DWORD
	v_sub_u16_e32 v59, v0, v1
	v_cmp_gt_u16_e64 s[4:5], 40, v59
	v_lshlrev_b32_e32 v56, 3, v59
	s_and_saveexec_b64 s[2:3], s[4:5]
	s_cbranch_execz .LBB0_3
; %bb.2:
	s_load_dwordx2 s[8:9], s[0:1], 0x18
	v_mov_b32_e32 v0, s6
	v_mov_b32_e32 v1, s7
	;; [unrolled: 1-line block ×3, first 2 shown]
	v_or_b32_e32 v39, 0x140, v59
	s_waitcnt lgkmcnt(0)
	s_load_dwordx4 s[8:11], s[8:9], 0x0
	s_waitcnt lgkmcnt(0)
	v_mad_u64_u32 v[2:3], s[6:7], s10, v58, 0
	v_mad_u64_u32 v[4:5], s[6:7], s8, v59, 0
	v_mov_b32_e32 v6, v3
	v_mov_b32_e32 v8, v5
	v_mad_u64_u32 v[6:7], s[6:7], s11, v58, v[6:7]
	v_mov_b32_e32 v3, v6
	v_mad_u64_u32 v[6:7], s[6:7], s9, v59, v[8:9]
	v_mov_b32_e32 v5, v6
	v_lshl_add_u64 v[0:1], v[2:3], 3, v[0:1]
	v_lshl_add_u64 v[2:3], v[4:5], 3, v[0:1]
	global_load_dwordx2 v[4:5], v[2:3], off
	v_mad_u64_u32 v[2:3], s[6:7], s8, v50, v[2:3]
	s_mul_i32 s10, s9, 0x140
	v_add_u32_e32 v3, s10, v3
	v_mad_u64_u32 v[6:7], s[6:7], s8, v50, v[2:3]
	v_add_u32_e32 v7, s10, v7
	v_mad_u64_u32 v[8:9], s[6:7], s8, v50, v[6:7]
	;; [unrolled: 2-line block ×3, first 2 shown]
	v_add_u32_e32 v19, s10, v19
	global_load_dwordx2 v[10:11], v56, s[12:13]
	global_load_dwordx2 v[12:13], v56, s[12:13] offset:320
	global_load_dwordx2 v[14:15], v56, s[12:13] offset:640
	;; [unrolled: 1-line block ×3, first 2 shown]
	v_mad_u64_u32 v[36:37], s[6:7], s8, v39, 0
	global_load_dwordx2 v[2:3], v[2:3], off
	s_nop 0
	global_load_dwordx2 v[20:21], v[6:7], off
	global_load_dwordx2 v[22:23], v[8:9], off
	;; [unrolled: 1-line block ×3, first 2 shown]
	v_mad_u64_u32 v[6:7], s[6:7], s8, v50, v[18:19]
	v_add_u32_e32 v7, s10, v7
	global_load_dwordx2 v[8:9], v[6:7], off
	v_mad_u64_u32 v[6:7], s[6:7], s8, v50, v[6:7]
	v_mov_b32_e32 v38, v37
	v_add_u32_e32 v7, s10, v7
	v_mad_u64_u32 v[38:39], s[6:7], s9, v39, v[38:39]
	global_load_dwordx2 v[18:19], v[6:7], off
	global_load_dwordx2 v[26:27], v56, s[12:13] offset:1280
	v_mad_u64_u32 v[6:7], s[6:7], s8, v50, v[6:7]
	v_mov_b32_e32 v37, v38
	v_add_u32_e32 v7, s10, v7
	v_lshl_add_u64 v[0:1], v[36:37], 3, v[0:1]
	v_mov_b32_e32 v36, 0x280
	global_load_dwordx2 v[28:29], v[6:7], off
	global_load_dwordx2 v[30:31], v56, s[12:13] offset:1600
	global_load_dwordx2 v[32:33], v56, s[12:13] offset:1920
	;; [unrolled: 1-line block ×3, first 2 shown]
	v_mad_u64_u32 v[6:7], s[6:7], s8, v36, v[6:7]
	s_mul_i32 s6, s9, 0x280
	s_nop 0
	v_add_u32_e32 v7, s6, v7
	global_load_dwordx2 v[0:1], v[0:1], off
	s_nop 0
	global_load_dwordx2 v[36:37], v56, s[12:13] offset:2560
	global_load_dwordx2 v[38:39], v[6:7], off
	global_load_dwordx2 v[40:41], v56, s[12:13] offset:2880
	v_mad_u64_u32 v[6:7], s[6:7], s8, v50, v[6:7]
	v_add_u32_e32 v7, s10, v7
	global_load_dwordx2 v[42:43], v[6:7], off
	global_load_dwordx2 v[44:45], v56, s[12:13] offset:3200
	v_mad_u64_u32 v[6:7], s[6:7], s8, v50, v[6:7]
	v_add_u32_e32 v7, s10, v7
	global_load_dwordx2 v[46:47], v[6:7], off
	global_load_dwordx2 v[48:49], v56, s[12:13] offset:3520
	v_mad_u64_u32 v[6:7], s[6:7], s8, v50, v[6:7]
	v_add_u32_e32 v7, s10, v7
	global_load_dwordx2 v[50:51], v56, s[12:13] offset:3840
	global_load_dwordx2 v[52:53], v[6:7], off
	s_waitcnt vmcnt(24)
	v_mul_f32_e32 v6, v5, v11
	v_mul_f32_e32 v7, v4, v11
	v_fmac_f32_e32 v6, v4, v10
	v_fma_f32 v7, v5, v10, -v7
	s_waitcnt vmcnt(20)
	v_mul_f32_e32 v4, v3, v13
	v_mul_f32_e32 v5, v2, v13
	v_fmac_f32_e32 v4, v2, v12
	v_fma_f32 v5, v3, v12, -v5
	ds_write2_b64 v56, v[6:7], v[4:5] offset1:40
	s_waitcnt vmcnt(19)
	v_mul_f32_e32 v2, v21, v15
	v_mul_f32_e32 v3, v20, v15
	s_waitcnt vmcnt(18)
	v_mul_f32_e32 v4, v23, v17
	v_mul_f32_e32 v5, v22, v17
	v_fmac_f32_e32 v2, v20, v14
	v_fma_f32 v3, v21, v14, -v3
	v_fmac_f32_e32 v4, v22, v16
	v_fma_f32 v5, v23, v16, -v5
	ds_write2_b64 v56, v[2:3], v[4:5] offset0:80 offset1:120
	s_waitcnt vmcnt(14)
	v_mul_f32_e32 v2, v25, v27
	v_mul_f32_e32 v3, v24, v27
	v_fmac_f32_e32 v2, v24, v26
	s_waitcnt vmcnt(12)
	v_mul_f32_e32 v4, v9, v31
	v_mul_f32_e32 v5, v8, v31
	v_fma_f32 v3, v25, v26, -v3
	v_fmac_f32_e32 v4, v8, v30
	v_fma_f32 v5, v9, v30, -v5
	ds_write2_b64 v56, v[2:3], v[4:5] offset0:160 offset1:200
	s_waitcnt vmcnt(11)
	v_mul_f32_e32 v2, v19, v33
	v_mul_f32_e32 v3, v18, v33
	s_waitcnt vmcnt(10)
	v_mul_f32_e32 v4, v29, v35
	v_mul_f32_e32 v5, v28, v35
	v_fmac_f32_e32 v2, v18, v32
	v_fma_f32 v3, v19, v32, -v3
	v_fmac_f32_e32 v4, v28, v34
	v_fma_f32 v5, v29, v34, -v5
	v_add_u32_e32 v6, 0x400, v56
	ds_write2_b64 v6, v[2:3], v[4:5] offset0:112 offset1:152
	s_waitcnt vmcnt(8)
	v_mul_f32_e32 v2, v1, v37
	v_fmac_f32_e32 v2, v0, v36
	v_mul_f32_e32 v0, v0, v37
	v_fma_f32 v3, v1, v36, -v0
	s_waitcnt vmcnt(6)
	v_mul_f32_e32 v0, v39, v41
	v_mul_f32_e32 v1, v38, v41
	v_fmac_f32_e32 v0, v38, v40
	v_fma_f32 v1, v39, v40, -v1
	v_add_u32_e32 v4, 0x800, v56
	ds_write2_b64 v4, v[2:3], v[0:1] offset0:64 offset1:104
	s_waitcnt vmcnt(4)
	v_mul_f32_e32 v0, v43, v45
	v_mul_f32_e32 v1, v42, v45
	s_waitcnt vmcnt(2)
	v_mul_f32_e32 v2, v47, v49
	v_mul_f32_e32 v3, v46, v49
	v_fmac_f32_e32 v0, v42, v44
	v_fma_f32 v1, v43, v44, -v1
	v_fmac_f32_e32 v2, v46, v48
	v_fma_f32 v3, v47, v48, -v3
	ds_write2_b64 v4, v[0:1], v[2:3] offset0:144 offset1:184
	s_waitcnt vmcnt(0)
	v_mul_f32_e32 v0, v53, v51
	v_mul_f32_e32 v1, v52, v51
	v_fmac_f32_e32 v0, v52, v50
	v_fma_f32 v1, v53, v50, -v1
	ds_write_b64 v56, v[0:1] offset:3840
.LBB0_3:
	s_or_b64 exec, exec, s[2:3]
	s_load_dwordx2 s[2:3], s[0:1], 0x20
	s_load_dwordx2 s[6:7], s[0:1], 0x8
	v_mov_b64_e32 v[0:1], 0
	s_waitcnt lgkmcnt(0)
	; wave barrier
	s_waitcnt lgkmcnt(0)
                                        ; implicit-def: $vgpr6
                                        ; implicit-def: $vgpr12
                                        ; implicit-def: $vgpr10
                                        ; implicit-def: $vgpr20
                                        ; implicit-def: $vgpr18
                                        ; implicit-def: $vgpr44
	s_and_saveexec_b64 s[0:1], s[4:5]
	s_cbranch_execz .LBB0_5
; %bb.4:
	v_add_u32_e32 v4, 0x400, v56
	v_add_u32_e32 v20, 0x800, v56
	ds_read2_b64 v[0:3], v56 offset1:40
	ds_read2_b64 v[16:19], v56 offset0:80 offset1:120
	ds_read2_b64 v[8:11], v56 offset0:160 offset1:200
	;; [unrolled: 1-line block ×5, first 2 shown]
	ds_read_b64 v[44:45], v56 offset:3840
.LBB0_5:
	s_or_b64 exec, exec, s[0:1]
	s_waitcnt lgkmcnt(0)
	v_pk_add_f32 v[42:43], v[2:3], v[44:45] neg_lo:[0,1] neg_hi:[0,1]
	s_mov_b32 s22, 0xbf52af12
	v_pk_add_f32 v[40:41], v[44:45], v[2:3]
	v_pk_add_f32 v[38:39], v[16:17], v[22:23] neg_lo:[0,1] neg_hi:[0,1]
	s_mov_b32 s0, 0x3f116cb1
	s_mov_b32 s10, 0xbf6f5d39
	v_pk_mul_f32 v[28:29], v[42:43], s[22:23] op_sel_hi:[1,0]
	v_pk_add_f32 v[36:37], v[22:23], v[16:17]
	v_pk_add_f32 v[34:35], v[18:19], v[20:21] neg_lo:[0,1] neg_hi:[0,1]
	s_mov_b32 s8, 0xbeb58ec6
	s_mov_b32 s20, 0xbe750f2a
	v_pk_fma_f32 v[54:55], v[40:41], s[0:1], v[28:29] op_sel:[0,0,1] op_sel_hi:[1,0,0]
	v_pk_fma_f32 v[60:61], v[40:41], s[0:1], v[28:29] op_sel:[0,0,1] op_sel_hi:[1,0,0] neg_lo:[0,0,1] neg_hi:[0,0,1]
	v_pk_mul_f32 v[30:31], v[38:39], s[10:11] op_sel_hi:[1,0]
	v_pk_add_f32 v[32:33], v[20:21], v[18:19]
	s_mov_b32 s18, 0xbf788fa5
	v_mov_b32_e32 v28, v54
	v_mov_b32_e32 v29, v61
	v_pk_fma_f32 v[62:63], v[36:37], s[8:9], v[30:31] op_sel:[0,0,1] op_sel_hi:[1,0,0]
	v_pk_fma_f32 v[64:65], v[36:37], s[8:9], v[30:31] op_sel:[0,0,1] op_sel_hi:[1,0,0] neg_lo:[0,0,1] neg_hi:[0,0,1]
	v_pk_mul_f32 v[46:47], v[34:35], s[20:21] op_sel_hi:[1,0]
	v_mov_b32_e32 v30, v62
	v_mov_b32_e32 v31, v65
	v_pk_fma_f32 v[66:67], v[32:33], s[18:19], v[46:47] op_sel:[0,0,1] op_sel_hi:[1,0,0]
	v_pk_fma_f32 v[70:71], v[32:33], s[18:19], v[46:47] op_sel:[0,0,1] op_sel_hi:[1,0,0] neg_lo:[0,0,1] neg_hi:[0,0,1]
	v_pk_add_f32 v[28:29], v[28:29], v[0:1]
	v_pk_add_f32 v[26:27], v[8:9], v[14:15] neg_lo:[0,1] neg_hi:[0,1]
	v_pk_add_f32 v[28:29], v[30:31], v[28:29]
	v_mov_b32_e32 v30, v66
	v_mov_b32_e32 v31, v71
	s_mov_b32 s38, 0x3f29c268
	v_pk_add_f32 v[24:25], v[14:15], v[8:9]
	s_mov_b32 s16, 0xbf3f9e67
	v_pk_add_f32 v[28:29], v[30:31], v[28:29]
	v_pk_mul_f32 v[30:31], v[26:27], s[38:39] op_sel_hi:[1,0]
	s_mov_b32 s26, 0x3f7e222b
	v_pk_fma_f32 v[72:73], v[24:25], s[16:17], v[30:31] op_sel:[0,0,1] op_sel_hi:[1,0,0]
	v_pk_fma_f32 v[74:75], v[24:25], s[16:17], v[30:31] op_sel:[0,0,1] op_sel_hi:[1,0,0] neg_lo:[0,0,1] neg_hi:[0,0,1]
	v_mov_b32_e32 v30, v72
	v_mov_b32_e32 v31, v75
	v_pk_add_f32 v[48:49], v[10:11], v[12:13] neg_lo:[0,1] neg_hi:[0,1]
	v_pk_add_f32 v[28:29], v[30:31], v[28:29]
	s_mov_b32 s24, 0x3df6dbef
	v_pk_add_f32 v[46:47], v[12:13], v[10:11]
	v_pk_mul_f32 v[30:31], v[48:49], s[26:27] op_sel_hi:[1,0]
	s_mov_b32 s40, 0xbf7e222b
	v_pk_fma_f32 v[76:77], v[46:47], s[24:25], v[30:31] op_sel:[0,0,1] op_sel_hi:[1,0,0]
	v_pk_fma_f32 v[78:79], v[46:47], s[24:25], v[30:31] op_sel:[0,0,1] op_sel_hi:[1,0,0] neg_lo:[0,0,1] neg_hi:[0,0,1]
	v_mov_b32_e32 v30, v76
	v_mov_b32_e32 v31, v79
	v_pk_add_f32 v[28:29], v[30:31], v[28:29]
	v_pk_mul_f32 v[30:31], v[42:43], s[40:41] op_sel_hi:[1,0]
	v_pk_mul_f32 v[50:51], v[38:39], s[20:21] op_sel_hi:[1,0]
	v_pk_fma_f32 v[80:81], v[40:41], s[24:25], v[30:31] op_sel:[0,0,1] op_sel_hi:[1,0,0]
	v_pk_fma_f32 v[82:83], v[40:41], s[24:25], v[30:31] op_sel:[0,0,1] op_sel_hi:[1,0,0] neg_lo:[0,0,1] neg_hi:[0,0,1]
	v_mov_b32_e32 v30, v80
	v_mov_b32_e32 v31, v83
	v_pk_fma_f32 v[84:85], v[36:37], s[18:19], v[50:51] op_sel:[0,0,1] op_sel_hi:[1,0,0]
	v_pk_fma_f32 v[86:87], v[36:37], s[18:19], v[50:51] op_sel:[0,0,1] op_sel_hi:[1,0,0] neg_lo:[0,0,1] neg_hi:[0,0,1]
	v_mov_b32_e32 v50, v84
	v_mov_b32_e32 v51, v87
	v_pk_add_f32 v[30:31], v[30:31], v[0:1]
	s_mov_b32 s28, 0x3f6f5d39
	v_pk_add_f32 v[30:31], v[50:51], v[30:31]
	v_pk_mul_f32 v[50:51], v[34:35], s[28:29] op_sel_hi:[1,0]
	s_mov_b32 s34, 0x3eedf032
	v_pk_fma_f32 v[88:89], v[32:33], s[8:9], v[50:51] op_sel:[0,0,1] op_sel_hi:[1,0,0]
	v_pk_fma_f32 v[90:91], v[32:33], s[8:9], v[50:51] op_sel:[0,0,1] op_sel_hi:[1,0,0] neg_lo:[0,0,1] neg_hi:[0,0,1]
	v_mov_b32_e32 v50, v88
	v_mov_b32_e32 v51, v91
	v_pk_add_f32 v[30:31], v[50:51], v[30:31]
	s_mov_b32 s30, 0x3f62ad3f
	v_pk_mul_f32 v[50:51], v[26:27], s[34:35] op_sel_hi:[1,0]
	v_pk_add_f32 v[52:53], v[4:5], v[6:7] neg_lo:[0,1] neg_hi:[0,1]
	v_pk_fma_f32 v[92:93], v[24:25], s[30:31], v[50:51] op_sel:[0,0,1] op_sel_hi:[1,0,0]
	v_pk_fma_f32 v[94:95], v[24:25], s[30:31], v[50:51] op_sel:[0,0,1] op_sel_hi:[1,0,0] neg_lo:[0,0,1] neg_hi:[0,0,1]
	v_mov_b32_e32 v50, v92
	v_mov_b32_e32 v51, v95
	v_pk_add_f32 v[30:31], v[50:51], v[30:31]
	v_pk_mul_f32 v[50:51], v[48:49], s[22:23] op_sel_hi:[1,0]
	s_mov_b32 s36, 0xbf29c268
	v_pk_fma_f32 v[96:97], v[46:47], s[0:1], v[50:51] op_sel:[0,0,1] op_sel_hi:[1,0,0]
	v_pk_fma_f32 v[98:99], v[46:47], s[0:1], v[50:51] op_sel:[0,0,1] op_sel_hi:[1,0,0] neg_lo:[0,0,1] neg_hi:[0,0,1]
	v_mov_b32_e32 v50, v96
	v_mov_b32_e32 v51, v99
	v_pk_add_f32 v[68:69], v[50:51], v[30:31]
	v_pk_add_f32 v[50:51], v[6:7], v[4:5]
	v_pk_mul_f32 v[30:31], v[52:53], s[34:35] op_sel_hi:[1,0]
	s_mov_b32 s28, 0xbeedf032
	v_pk_fma_f32 v[104:105], v[50:51], s[30:31], v[30:31] op_sel:[0,0,1] op_sel_hi:[1,0,0]
	v_pk_fma_f32 v[106:107], v[50:51], s[30:31], v[30:31] op_sel:[0,0,1] op_sel_hi:[1,0,0] neg_lo:[0,0,1] neg_hi:[0,0,1]
	v_mov_b32_e32 v30, v104
	v_mov_b32_e32 v31, v107
	v_pk_add_f32 v[30:31], v[30:31], v[28:29]
	v_pk_mul_f32 v[28:29], v[52:53], s[36:37] op_sel_hi:[1,0]
	v_pk_mul_f32 v[114:115], v[38:39], s[22:23] op_sel_hi:[1,0]
	v_pk_fma_f32 v[100:101], v[50:51], s[16:17], v[28:29] op_sel:[0,0,1] op_sel_hi:[1,0,0]
	v_pk_fma_f32 v[102:103], v[50:51], s[16:17], v[28:29] op_sel:[0,0,1] op_sel_hi:[1,0,0] neg_lo:[0,0,1] neg_hi:[0,0,1]
	v_mov_b32_e32 v28, v100
	v_mov_b32_e32 v29, v103
	v_pk_add_f32 v[28:29], v[28:29], v[68:69]
	v_pk_mul_f32 v[68:69], v[42:43], s[28:29] op_sel_hi:[1,0]
	v_pk_fma_f32 v[112:113], v[36:37], s[0:1], v[114:115] op_sel:[0,0,1] op_sel_hi:[1,0,0]
	v_pk_fma_f32 v[108:109], v[40:41], s[30:31], v[68:69] op_sel:[0,0,1] op_sel_hi:[1,0,0]
	v_pk_fma_f32 v[110:111], v[40:41], s[30:31], v[68:69] op_sel:[0,0,1] op_sel_hi:[1,0,0] neg_lo:[0,0,1] neg_hi:[0,0,1]
	v_mov_b32_e32 v68, v108
	v_mov_b32_e32 v69, v111
	v_pk_fma_f32 v[114:115], v[36:37], s[0:1], v[114:115] op_sel:[0,0,1] op_sel_hi:[1,0,0] neg_lo:[0,0,1] neg_hi:[0,0,1]
	v_pk_add_f32 v[68:69], v[68:69], v[0:1]
	v_mov_b32_e32 v116, v112
	v_mov_b32_e32 v117, v115
	v_pk_mul_f32 v[118:119], v[34:35], s[40:41] op_sel_hi:[1,0]
	v_pk_add_f32 v[68:69], v[116:117], v[68:69]
	v_pk_fma_f32 v[116:117], v[32:33], s[24:25], v[118:119] op_sel:[0,0,1] op_sel_hi:[1,0,0]
	v_pk_fma_f32 v[118:119], v[32:33], s[24:25], v[118:119] op_sel:[0,0,1] op_sel_hi:[1,0,0] neg_lo:[0,0,1] neg_hi:[0,0,1]
	v_mov_b32_e32 v120, v116
	v_mov_b32_e32 v121, v119
	v_pk_mul_f32 v[122:123], v[26:27], s[10:11] op_sel_hi:[1,0]
	v_pk_add_f32 v[68:69], v[120:121], v[68:69]
	v_pk_fma_f32 v[120:121], v[24:25], s[8:9], v[122:123] op_sel:[0,0,1] op_sel_hi:[1,0,0]
	v_pk_fma_f32 v[122:123], v[24:25], s[8:9], v[122:123] op_sel:[0,0,1] op_sel_hi:[1,0,0] neg_lo:[0,0,1] neg_hi:[0,0,1]
	v_mov_b32_e32 v124, v120
	v_mov_b32_e32 v125, v123
	v_pk_mul_f32 v[126:127], v[48:49], s[36:37] op_sel_hi:[1,0]
	v_pk_add_f32 v[68:69], v[124:125], v[68:69]
	v_pk_fma_f32 v[124:125], v[46:47], s[16:17], v[126:127] op_sel:[0,0,1] op_sel_hi:[1,0,0]
	v_pk_fma_f32 v[126:127], v[46:47], s[16:17], v[126:127] op_sel:[0,0,1] op_sel_hi:[1,0,0] neg_lo:[0,0,1] neg_hi:[0,0,1]
	v_mov_b32_e32 v128, v124
	v_mov_b32_e32 v129, v127
	v_pk_mul_f32 v[130:131], v[52:53], s[20:21] op_sel_hi:[1,0]
	v_pk_add_f32 v[68:69], v[128:129], v[68:69]
	v_pk_fma_f32 v[128:129], v[50:51], s[18:19], v[130:131] op_sel:[0,0,1] op_sel_hi:[1,0,0]
	v_pk_fma_f32 v[130:131], v[50:51], s[18:19], v[130:131] op_sel:[0,0,1] op_sel_hi:[1,0,0] neg_lo:[0,0,1] neg_hi:[0,0,1]
	v_mov_b32_e32 v132, v128
	v_mov_b32_e32 v133, v131
	v_pk_add_f32 v[68:69], v[132:133], v[68:69]
	v_mul_lo_u16_e32 v161, 13, v59
	s_waitcnt lgkmcnt(0)
	; wave barrier
	s_and_saveexec_b64 s[28:29], s[4:5]
	s_cbranch_execz .LBB0_7
; %bb.6:
	v_pk_add_f32 v[2:3], v[2:3], v[0:1]
	v_mov_b32_e32 v111, v109
	v_pk_add_f32 v[2:3], v[16:17], v[2:3]
	v_mov_b32_e32 v115, v113
	;; [unrolled: 2-line block ×5, first 2 shown]
	v_pk_add_f32 v[2:3], v[4:5], v[2:3]
	v_pk_add_f32 v[4:5], v[110:111], v[0:1]
	;; [unrolled: 1-line block ×11, first 2 shown]
	v_mov_b32_e32 v131, v129
	v_lshlrev_b32_e32 v57, 3, v161
	v_pk_add_f32 v[2:3], v[44:45], v[2:3]
	v_pk_add_f32 v[4:5], v[130:131], v[4:5]
	v_mov_b32_e32 v61, v55
	v_mov_b32_e32 v83, v81
	ds_write2_b64 v57, v[2:3], v[4:5] offset1:1
	v_pk_add_f32 v[2:3], v[60:61], v[0:1]
	v_mov_b32_e32 v65, v63
	v_pk_add_f32 v[4:5], v[82:83], v[0:1]
	v_mov_b32_e32 v87, v85
	;; [unrolled: 2-line block ×10, first 2 shown]
	v_pk_add_f32 v[2:3], v[106:107], v[2:3]
	v_pk_add_f32 v[4:5], v[102:103], v[4:5]
	ds_write2_b64 v57, v[2:3], v[4:5] offset0:2 offset1:3
	v_pk_mul_f32 v[2:3], v[42:43], s[10:11] op_sel_hi:[1,0]
	v_pk_mul_f32 v[4:5], v[38:39], s[38:39] op_sel_hi:[1,0]
	v_pk_fma_f32 v[14:15], v[40:41], s[8:9], v[2:3] op_sel:[0,0,1] op_sel_hi:[1,0,0] neg_lo:[0,0,1] neg_hi:[0,0,1]
	v_pk_fma_f32 v[2:3], v[40:41], s[8:9], v[2:3] op_sel:[0,0,1] op_sel_hi:[1,0,0]
	v_mov_b32_e32 v16, v14
	v_mov_b32_e32 v17, v3
	v_pk_fma_f32 v[18:19], v[36:37], s[16:17], v[4:5] op_sel:[0,0,1] op_sel_hi:[1,0,0] neg_lo:[0,0,1] neg_hi:[0,0,1]
	v_pk_fma_f32 v[4:5], v[36:37], s[16:17], v[4:5] op_sel:[0,0,1] op_sel_hi:[1,0,0]
	v_pk_mul_f32 v[6:7], v[34:35], s[34:35] op_sel_hi:[1,0]
	v_pk_add_f32 v[16:17], v[16:17], v[0:1]
	v_mov_b32_e32 v20, v18
	v_mov_b32_e32 v21, v5
	v_pk_add_f32 v[16:17], v[20:21], v[16:17]
	v_pk_fma_f32 v[20:21], v[32:33], s[30:31], v[6:7] op_sel:[0,0,1] op_sel_hi:[1,0,0] neg_lo:[0,0,1] neg_hi:[0,0,1]
	v_pk_fma_f32 v[6:7], v[32:33], s[30:31], v[6:7] op_sel:[0,0,1] op_sel_hi:[1,0,0]
	v_pk_mul_f32 v[8:9], v[26:27], s[40:41] op_sel_hi:[1,0]
	v_mov_b32_e32 v22, v20
	v_mov_b32_e32 v23, v7
	s_mov_b32 s40, 0x3e750f2a
	v_pk_add_f32 v[16:17], v[22:23], v[16:17]
	v_pk_fma_f32 v[22:23], v[24:25], s[24:25], v[8:9] op_sel:[0,0,1] op_sel_hi:[1,0,0] neg_lo:[0,0,1] neg_hi:[0,0,1]
	v_pk_fma_f32 v[8:9], v[24:25], s[24:25], v[8:9] op_sel:[0,0,1] op_sel_hi:[1,0,0]
	v_pk_mul_f32 v[10:11], v[48:49], s[40:41] op_sel_hi:[1,0]
	v_mov_b32_e32 v44, v22
	v_mov_b32_e32 v45, v9
	s_mov_b32 s38, 0x3f52af12
	v_pk_add_f32 v[16:17], v[44:45], v[16:17]
	v_pk_fma_f32 v[44:45], v[46:47], s[18:19], v[10:11] op_sel:[0,0,1] op_sel_hi:[1,0,0] neg_lo:[0,0,1] neg_hi:[0,0,1]
	v_pk_fma_f32 v[10:11], v[46:47], s[18:19], v[10:11] op_sel:[0,0,1] op_sel_hi:[1,0,0]
	v_pk_mul_f32 v[12:13], v[52:53], s[38:39] op_sel_hi:[1,0]
	v_mov_b32_e32 v54, v44
	v_mov_b32_e32 v55, v11
	v_pk_add_f32 v[16:17], v[54:55], v[16:17]
	v_pk_fma_f32 v[54:55], v[50:51], s[0:1], v[12:13] op_sel:[0,0,1] op_sel_hi:[1,0,0] neg_lo:[0,0,1] neg_hi:[0,0,1]
	v_pk_fma_f32 v[12:13], v[50:51], s[0:1], v[12:13] op_sel:[0,0,1] op_sel_hi:[1,0,0]
	v_mov_b32_e32 v60, v54
	v_mov_b32_e32 v61, v13
	v_pk_add_f32 v[16:17], v[60:61], v[16:17]
	v_pk_mul_f32 v[60:61], v[42:43], s[36:37] op_sel_hi:[1,0]
	v_pk_mul_f32 v[62:63], v[38:39], s[26:27] op_sel_hi:[1,0]
	v_pk_fma_f32 v[74:75], v[40:41], s[16:17], v[60:61] op_sel:[0,0,1] op_sel_hi:[1,0,0] neg_lo:[0,0,1] neg_hi:[0,0,1]
	v_pk_fma_f32 v[60:61], v[40:41], s[16:17], v[60:61] op_sel:[0,0,1] op_sel_hi:[1,0,0]
	v_mov_b32_e32 v76, v74
	v_mov_b32_e32 v77, v61
	v_pk_fma_f32 v[78:79], v[36:37], s[24:25], v[62:63] op_sel:[0,0,1] op_sel_hi:[1,0,0] neg_lo:[0,0,1] neg_hi:[0,0,1]
	v_pk_fma_f32 v[62:63], v[36:37], s[24:25], v[62:63] op_sel:[0,0,1] op_sel_hi:[1,0,0]
	v_pk_mul_f32 v[64:65], v[34:35], s[22:23] op_sel_hi:[1,0]
	v_pk_add_f32 v[76:77], v[76:77], v[0:1]
	v_mov_b32_e32 v80, v78
	v_mov_b32_e32 v81, v63
	v_pk_add_f32 v[76:77], v[80:81], v[76:77]
	v_pk_fma_f32 v[80:81], v[32:33], s[0:1], v[64:65] op_sel:[0,0,1] op_sel_hi:[1,0,0] neg_lo:[0,0,1] neg_hi:[0,0,1]
	v_pk_fma_f32 v[64:65], v[32:33], s[0:1], v[64:65] op_sel:[0,0,1] op_sel_hi:[1,0,0]
	v_pk_mul_f32 v[66:67], v[26:27], s[40:41] op_sel_hi:[1,0]
	v_mov_b32_e32 v82, v80
	v_mov_b32_e32 v83, v65
	v_pk_add_f32 v[76:77], v[82:83], v[76:77]
	v_pk_fma_f32 v[82:83], v[24:25], s[18:19], v[66:67] op_sel:[0,0,1] op_sel_hi:[1,0,0] neg_lo:[0,0,1] neg_hi:[0,0,1]
	v_pk_fma_f32 v[66:67], v[24:25], s[18:19], v[66:67] op_sel:[0,0,1] op_sel_hi:[1,0,0]
	v_pk_mul_f32 v[70:71], v[48:49], s[34:35] op_sel_hi:[1,0]
	;; [unrolled: 6-line block ×3, first 2 shown]
	v_mov_b32_e32 v86, v84
	v_mov_b32_e32 v87, v71
	v_pk_add_f32 v[76:77], v[86:87], v[76:77]
	v_pk_fma_f32 v[86:87], v[50:51], s[8:9], v[72:73] op_sel:[0,0,1] op_sel_hi:[1,0,0] neg_lo:[0,0,1] neg_hi:[0,0,1]
	v_pk_fma_f32 v[72:73], v[50:51], s[8:9], v[72:73] op_sel:[0,0,1] op_sel_hi:[1,0,0]
	v_mov_b32_e32 v88, v86
	v_mov_b32_e32 v89, v73
	v_pk_add_f32 v[76:77], v[88:89], v[76:77]
	ds_write2_b64 v57, v[16:17], v[76:77] offset0:4 offset1:5
	v_pk_mul_f32 v[16:17], v[42:43], s[20:21] op_sel_hi:[1,0]
	v_pk_mul_f32 v[38:39], v[38:39], s[34:35] op_sel_hi:[1,0]
	v_pk_fma_f32 v[42:43], v[40:41], s[18:19], v[16:17] op_sel:[0,0,1] op_sel_hi:[1,0,0] neg_lo:[0,0,1] neg_hi:[0,0,1]
	v_pk_fma_f32 v[16:17], v[40:41], s[18:19], v[16:17] op_sel:[0,0,1] op_sel_hi:[1,0,0]
	v_mov_b32_e32 v40, v42
	v_mov_b32_e32 v41, v17
	v_pk_fma_f32 v[76:77], v[36:37], s[30:31], v[38:39] op_sel:[0,0,1] op_sel_hi:[1,0,0] neg_lo:[0,0,1] neg_hi:[0,0,1]
	v_pk_fma_f32 v[36:37], v[36:37], s[30:31], v[38:39] op_sel:[0,0,1] op_sel_hi:[1,0,0]
	v_pk_add_f32 v[40:41], v[40:41], v[0:1]
	v_mov_b32_e32 v38, v76
	v_mov_b32_e32 v39, v37
	v_pk_mul_f32 v[34:35], v[34:35], s[36:37] op_sel_hi:[1,0]
	v_pk_add_f32 v[38:39], v[38:39], v[40:41]
	v_pk_fma_f32 v[40:41], v[32:33], s[16:17], v[34:35] op_sel:[0,0,1] op_sel_hi:[1,0,0] neg_lo:[0,0,1] neg_hi:[0,0,1]
	v_pk_fma_f32 v[32:33], v[32:33], s[16:17], v[34:35] op_sel:[0,0,1] op_sel_hi:[1,0,0]
	v_mov_b32_e32 v34, v40
	v_mov_b32_e32 v35, v33
	v_pk_mul_f32 v[26:27], v[26:27], s[38:39] op_sel_hi:[1,0]
	v_pk_add_f32 v[34:35], v[34:35], v[38:39]
	v_pk_fma_f32 v[38:39], v[24:25], s[0:1], v[26:27] op_sel:[0,0,1] op_sel_hi:[1,0,0] neg_lo:[0,0,1] neg_hi:[0,0,1]
	v_pk_fma_f32 v[24:25], v[24:25], s[0:1], v[26:27] op_sel:[0,0,1] op_sel_hi:[1,0,0]
	v_mov_b32_e32 v26, v38
	v_mov_b32_e32 v27, v25
	v_pk_add_f32 v[26:27], v[26:27], v[34:35]
	v_pk_mul_f32 v[34:35], v[48:49], s[10:11] op_sel_hi:[1,0]
	v_mov_b32_e32 v17, v43
	v_pk_fma_f32 v[48:49], v[46:47], s[8:9], v[34:35] op_sel:[0,0,1] op_sel_hi:[1,0,0] neg_lo:[0,0,1] neg_hi:[0,0,1]
	v_pk_fma_f32 v[34:35], v[46:47], s[8:9], v[34:35] op_sel:[0,0,1] op_sel_hi:[1,0,0]
	v_pk_add_f32 v[16:17], v[16:17], v[0:1]
	v_mov_b32_e32 v37, v77
	v_mov_b32_e32 v46, v48
	;; [unrolled: 1-line block ×3, first 2 shown]
	v_pk_add_f32 v[16:17], v[36:37], v[16:17]
	v_mov_b32_e32 v33, v41
	v_pk_add_f32 v[26:27], v[46:47], v[26:27]
	v_pk_mul_f32 v[46:47], v[52:53], s[26:27] op_sel_hi:[1,0]
	v_pk_add_f32 v[16:17], v[32:33], v[16:17]
	v_mov_b32_e32 v25, v39
	v_pk_fma_f32 v[52:53], v[50:51], s[24:25], v[46:47] op_sel:[0,0,1] op_sel_hi:[1,0,0] neg_lo:[0,0,1] neg_hi:[0,0,1]
	v_pk_fma_f32 v[46:47], v[50:51], s[24:25], v[46:47] op_sel:[0,0,1] op_sel_hi:[1,0,0]
	v_pk_add_f32 v[16:17], v[24:25], v[16:17]
	v_mov_b32_e32 v35, v49
	v_mov_b32_e32 v50, v52
	;; [unrolled: 1-line block ×3, first 2 shown]
	v_pk_add_f32 v[16:17], v[34:35], v[16:17]
	v_mov_b32_e32 v47, v53
	v_pk_add_f32 v[26:27], v[50:51], v[26:27]
	v_pk_add_f32 v[16:17], v[46:47], v[16:17]
	v_mov_b32_e32 v61, v75
	v_mov_b32_e32 v3, v15
	ds_write2_b64 v57, v[26:27], v[16:17] offset0:6 offset1:7
	v_pk_add_f32 v[16:17], v[60:61], v[0:1]
	v_mov_b32_e32 v63, v79
	v_pk_add_f32 v[0:1], v[2:3], v[0:1]
	v_mov_b32_e32 v5, v19
	;; [unrolled: 2-line block ×10, first 2 shown]
	v_pk_add_f32 v[16:17], v[72:73], v[16:17]
	v_pk_add_f32 v[0:1], v[12:13], v[0:1]
	ds_write2_b64 v57, v[16:17], v[0:1] offset0:8 offset1:9
	ds_write2_b64 v57, v[28:29], v[30:31] offset0:10 offset1:11
	ds_write_b64 v57, v[68:69] offset:96
.LBB0_7:
	s_or_b64 exec, exec, s[28:29]
	s_movk_i32 s0, 0x4f
	v_mul_lo_u16_sdwa v0, v59, s0 dst_sel:DWORD dst_unused:UNUSED_PAD src0_sel:BYTE_0 src1_sel:DWORD
	v_lshrrev_b16_e32 v40, 10, v0
	v_mul_lo_u16_e32 v0, 13, v40
	v_sub_u16_e32 v0, v59, v0
	v_and_b32_e32 v41, 0xff, v0
	s_movk_i32 s0, 0x48
	v_mov_b64_e32 v[0:1], s[6:7]
	v_mad_u64_u32 v[16:17], s[0:1], v41, s0, v[0:1]
	s_load_dwordx4 s[8:11], s[2:3], 0x0
	s_waitcnt lgkmcnt(0)
	; wave barrier
	s_waitcnt lgkmcnt(0)
	global_load_dwordx4 v[12:15], v[16:17], off
	global_load_dwordx4 v[8:11], v[16:17], off offset:16
	global_load_dwordx4 v[4:7], v[16:17], off offset:32
	;; [unrolled: 1-line block ×3, first 2 shown]
	global_load_dwordx2 v[60:61], v[16:17], off offset:64
	ds_read2_b64 v[16:19], v56 offset1:52
	ds_read2_b64 v[20:23], v56 offset0:104 offset1:156
	v_add_u32_e32 v24, 0x400, v56
	v_add_u32_e32 v57, 0x800, v56
	ds_read2_b64 v[24:27], v24 offset0:80 offset1:132
	ds_read2_b64 v[32:35], v57 offset0:56 offset1:108
	ds_read2_b64 v[36:39], v57 offset0:160 offset1:212
	v_mul_u32_u24_e32 v40, 0x82, v40
	v_add_lshl_u32 v160, v40, v41, 3
	s_mov_b32 s2, 0x3f737871
	s_mov_b32 s16, 0x3f167918
	;; [unrolled: 1-line block ×6, first 2 shown]
	s_waitcnt lgkmcnt(0)
	; wave barrier
	s_waitcnt vmcnt(4) lgkmcnt(0)
	v_pk_mul_f32 v[40:41], v[18:19], v[12:13] op_sel_hi:[1,0]
	v_mov_b32_e32 v42, v13
	v_mov_b32_e32 v44, v15
	s_waitcnt vmcnt(3)
	v_pk_mul_f32 v[46:47], v[22:23], v[8:9] op_sel_hi:[1,0]
	v_mov_b32_e32 v48, v9
	v_mov_b32_e32 v50, v11
	s_waitcnt vmcnt(2)
	;; [unrolled: 4-line block ×4, first 2 shown]
	v_pk_mul_f32 v[72:73], v[38:39], v[60:61] op_sel_hi:[1,0]
	v_mov_b32_e32 v74, v61
	v_pk_fma_f32 v[42:43], v[18:19], v[42:43], v[40:41] op_sel:[0,0,1] op_sel_hi:[1,1,0]
	v_pk_fma_f32 v[18:19], v[18:19], v[12:13], v[40:41] op_sel:[0,1,1] op_sel_hi:[1,1,0] neg_lo:[1,0,0] neg_hi:[1,0,0]
	v_pk_mul_f32 v[40:41], v[20:21], v[44:45] op_sel_hi:[1,0]
	v_pk_fma_f32 v[44:45], v[22:23], v[48:49], v[46:47] op_sel:[0,0,1] op_sel_hi:[1,1,0]
	v_pk_fma_f32 v[22:23], v[22:23], v[8:9], v[46:47] op_sel:[0,1,1] op_sel_hi:[1,1,0] neg_lo:[1,0,0] neg_hi:[1,0,0]
	v_pk_mul_f32 v[46:47], v[24:25], v[50:51] op_sel_hi:[1,0]
	;; [unrolled: 3-line block ×4, first 2 shown]
	v_pk_fma_f32 v[62:63], v[38:39], v[74:75], v[72:73] op_sel:[0,0,1] op_sel_hi:[1,1,0]
	v_pk_fma_f32 v[38:39], v[38:39], v[60:61], v[72:73] op_sel:[0,1,1] op_sel_hi:[1,1,0] neg_lo:[1,0,0] neg_hi:[1,0,0]
	v_mov_b32_e32 v43, v19
	v_pk_fma_f32 v[18:19], v[20:21], v[14:15], v[40:41] op_sel:[0,0,1] op_sel_hi:[1,1,0] neg_lo:[0,0,1] neg_hi:[0,0,1]
	v_pk_fma_f32 v[20:21], v[20:21], v[14:15], v[40:41] op_sel:[0,0,1] op_sel_hi:[1,0,0]
	v_mov_b32_e32 v45, v23
	v_pk_fma_f32 v[22:23], v[24:25], v[10:11], v[46:47] op_sel:[0,0,1] op_sel_hi:[1,1,0] neg_lo:[0,0,1] neg_hi:[0,0,1]
	v_pk_fma_f32 v[24:25], v[24:25], v[10:11], v[46:47] op_sel:[0,0,1] op_sel_hi:[1,0,0]
	;; [unrolled: 3-line block ×4, first 2 shown]
	v_mov_b32_e32 v63, v39
	v_mov_b32_e32 v19, v21
	v_mov_b32_e32 v23, v25
	v_mov_b32_e32 v27, v33
	v_mov_b32_e32 v35, v37
	v_pk_add_f32 v[24:25], v[48:49], v[52:53]
	v_pk_add_f32 v[32:33], v[44:45], v[62:63] neg_lo:[0,1] neg_hi:[0,1]
	v_pk_add_f32 v[40:41], v[44:45], v[48:49] neg_lo:[0,1] neg_hi:[0,1]
	;; [unrolled: 1-line block ×3, first 2 shown]
	v_pk_add_f32 v[50:51], v[22:23], v[26:27]
	v_pk_add_f32 v[64:65], v[18:19], v[22:23] neg_lo:[0,1] neg_hi:[0,1]
	v_pk_add_f32 v[66:67], v[34:35], v[26:27] neg_lo:[0,1] neg_hi:[0,1]
	v_pk_fma_f32 v[24:25], v[24:25], 0.5, v[42:43] op_sel_hi:[1,0,1] neg_lo:[1,0,0] neg_hi:[1,0,0]
	v_pk_add_f32 v[38:39], v[48:49], v[52:53] neg_lo:[0,1] neg_hi:[0,1]
	v_pk_add_f32 v[40:41], v[40:41], v[46:47]
	v_pk_fma_f32 v[46:47], v[50:51], 0.5, v[16:17] op_sel_hi:[1,0,1] neg_lo:[1,0,0] neg_hi:[1,0,0]
	v_pk_add_f32 v[50:51], v[64:65], v[66:67]
	v_pk_fma_f32 v[64:65], v[32:33], s[2:3], v[24:25] op_sel:[1,0,0] op_sel_hi:[0,0,1]
	v_pk_fma_f32 v[24:25], v[32:33], s[2:3], v[24:25] op_sel:[1,0,0] op_sel_hi:[0,0,1] neg_lo:[1,0,0] neg_hi:[1,0,0]
	v_pk_fma_f32 v[24:25], v[38:39], s[16:17], v[24:25] op_sel:[1,0,0] op_sel_hi:[0,0,1] neg_lo:[1,0,0] neg_hi:[1,0,0]
	v_pk_fma_f32 v[64:65], v[38:39], s[16:17], v[64:65] op_sel:[1,0,0] op_sel_hi:[0,0,1]
	v_mov_b32_e32 v66, v64
	v_mov_b32_e32 v67, v25
	v_pk_fma_f32 v[66:67], v[40:41], s[0:1], v[66:67] op_sel_hi:[1,0,1]
	v_pk_add_f32 v[72:73], v[48:49], v[44:45] neg_lo:[0,1] neg_hi:[0,1]
	v_pk_add_f32 v[74:75], v[52:53], v[62:63] neg_lo:[0,1] neg_hi:[0,1]
	v_mov_b32_e32 v20, v21
	v_pk_add_f32 v[72:73], v[72:73], v[74:75]
	v_pk_mul_f32 v[74:75], v[66:67], s[18:19] op_sel_hi:[1,0]
	v_mov_b32_e32 v21, v18
	v_pk_fma_f32 v[66:67], v[66:67], s[16:17], v[74:75] op_sel:[0,0,1] op_sel_hi:[1,1,0] neg_lo:[0,0,1] neg_hi:[0,0,1]
	v_pk_add_f32 v[74:75], v[16:17], v[18:19]
	v_mov_b32_e32 v36, v37
	v_mov_b32_e32 v37, v34
	v_pk_add_f32 v[54:55], v[22:23], v[26:27] neg_lo:[0,1] neg_hi:[0,1]
	v_pk_add_f32 v[70:71], v[18:19], v[34:35]
	v_pk_add_f32 v[74:75], v[74:75], v[22:23]
	v_pk_add_f32 v[20:21], v[20:21], v[36:37] neg_lo:[0,1] neg_hi:[0,1]
	v_pk_add_f32 v[18:19], v[22:23], v[18:19] neg_lo:[0,1] neg_hi:[0,1]
	;; [unrolled: 1-line block ×3, first 2 shown]
	v_mov_b32_e32 v25, v65
	v_pk_add_f32 v[74:75], v[74:75], v[26:27]
	v_pk_add_f32 v[76:77], v[42:43], v[44:45]
	;; [unrolled: 1-line block ×3, first 2 shown]
	v_pk_fma_f32 v[22:23], v[20:21], s[2:3], v[46:47] op_sel_hi:[1,0,1] neg_lo:[1,0,0] neg_hi:[1,0,0]
	v_pk_fma_f32 v[26:27], v[20:21], s[2:3], v[46:47] op_sel_hi:[1,0,1]
	v_pk_fma_f32 v[24:25], v[40:41], s[0:1], v[24:25] op_sel_hi:[1,0,1]
	v_pk_add_f32 v[48:49], v[76:77], v[48:49]
	v_pk_fma_f32 v[26:27], v[54:55], s[16:17], v[26:27] op_sel:[1,0,0] op_sel_hi:[0,0,1]
	v_pk_fma_f32 v[22:23], v[54:55], s[16:17], v[22:23] op_sel:[1,0,0] op_sel_hi:[0,0,1] neg_lo:[1,0,0] neg_hi:[1,0,0]
	v_pk_mul_f32 v[40:41], v[24:25], s[16:17] op_sel_hi:[1,0]
	v_pk_add_f32 v[74:75], v[74:75], v[34:35]
	v_pk_add_f32 v[48:49], v[48:49], v[52:53]
	v_mov_b32_e32 v35, v27
	v_pk_fma_f32 v[64:65], v[24:25], s[18:19], v[40:41] op_sel:[0,0,1] op_sel_hi:[1,0,0]
	v_pk_fma_f32 v[24:25], v[24:25], s[18:19], v[40:41] op_sel:[0,0,1] op_sel_hi:[1,0,0] neg_lo:[0,0,1] neg_hi:[0,0,1]
	v_mov_b32_e32 v27, v23
	v_pk_add_f32 v[48:49], v[48:49], v[62:63]
	v_mov_b32_e32 v34, v22
	v_mov_b32_e32 v40, v65
	;; [unrolled: 1-line block ×3, first 2 shown]
	v_pk_fma_f32 v[22:23], v[50:51], s[0:1], v[26:27] op_sel_hi:[1,0,1]
	v_pk_add_f32 v[52:53], v[74:75], v[48:49] op_sel:[0,1] op_sel_hi:[1,0]
	v_pk_add_f32 v[24:25], v[22:23], v[40:41]
	ds_write2_b64 v160, v[52:53], v[24:25] offset1:13
	v_pk_add_f32 v[24:25], v[44:45], v[62:63]
	v_pk_fma_f32 v[16:17], v[70:71], 0.5, v[16:17] op_sel_hi:[1,0,1] neg_lo:[1,0,0] neg_hi:[1,0,0]
	v_pk_fma_f32 v[24:25], v[24:25], 0.5, v[42:43] op_sel_hi:[1,0,1] neg_lo:[1,0,0] neg_hi:[1,0,0]
	v_pk_fma_f32 v[36:37], v[50:51], s[0:1], v[34:35] op_sel_hi:[1,0,1]
	v_pk_fma_f32 v[26:27], v[38:39], s[2:3], v[24:25] op_sel:[1,0,0] op_sel_hi:[0,0,1]
	v_pk_fma_f32 v[24:25], v[38:39], s[2:3], v[24:25] op_sel:[1,0,0] op_sel_hi:[0,0,1] neg_lo:[1,0,0] neg_hi:[1,0,0]
	v_pk_fma_f32 v[34:35], v[54:55], s[2:3], v[16:17] op_sel:[1,0,0] op_sel_hi:[0,0,1]
	v_pk_fma_f32 v[16:17], v[54:55], s[2:3], v[16:17] op_sel:[1,0,0] op_sel_hi:[0,0,1] neg_lo:[1,0,0] neg_hi:[1,0,0]
	v_pk_mul_f32 v[42:43], v[32:33], s[16:17] op_sel:[1,0] op_sel_hi:[0,0]
	v_pk_fma_f32 v[44:45], v[32:33], s[16:17], v[26:27] op_sel:[1,0,0] op_sel_hi:[0,0,1] neg_lo:[1,0,0] neg_hi:[1,0,0]
	v_mov_b32_e32 v38, v25
	v_mov_b32_e32 v39, v26
	v_pk_fma_f32 v[24:25], v[32:33], s[16:17], v[24:25] op_sel:[1,0,0] op_sel_hi:[0,0,1]
	v_pk_fma_f32 v[16:17], v[20:21], s[16:17], v[16:17] op_sel_hi:[1,0,1]
	v_pk_fma_f32 v[20:21], v[20:21], s[16:17], v[34:35] op_sel_hi:[1,0,1] neg_lo:[1,0,0] neg_hi:[1,0,0]
	v_pk_add_f32 v[26:27], v[38:39], v[42:43] op_sel:[0,1] op_sel_hi:[1,0]
	v_pk_add_f32 v[38:39], v[38:39], v[42:43] op_sel:[0,1] op_sel_hi:[1,0] neg_lo:[0,1] neg_hi:[0,1]
	v_mov_b32_e32 v25, v45
	v_mov_b32_e32 v34, v20
	v_mov_b32_e32 v35, v17
	v_pk_mul_f32 v[54:55], v[72:73], s[0:1] op_sel_hi:[1,0]
	v_mov_b32_e32 v27, v39
	v_mov_b32_e32 v17, v21
	v_pk_fma_f32 v[20:21], v[72:73], s[0:1], v[24:25] op_sel_hi:[1,0,1]
	v_pk_fma_f32 v[46:47], v[18:19], s[0:1], v[34:35] op_sel_hi:[1,0,1]
	;; [unrolled: 1-line block ×3, first 2 shown]
	v_pk_add_f32 v[18:19], v[54:55], v[26:27] op_sel:[1,0] op_sel_hi:[0,1]
	v_pk_mul_f32 v[24:25], v[20:21], s[0:1] op_sel_hi:[1,0]
	v_pk_add_f32 v[48:49], v[74:75], v[48:49] op_sel:[0,1] op_sel_hi:[1,0] neg_lo:[0,1] neg_hi:[0,1]
	v_pk_fma_f32 v[20:21], v[20:21], s[2:3], v[24:25] op_sel:[0,0,1] op_sel_hi:[1,1,0] neg_lo:[0,0,1] neg_hi:[0,0,1]
	v_pk_mul_f32 v[24:25], v[18:19], s[2:3] op_sel_hi:[1,0]
	v_pk_add_f32 v[32:33], v[46:47], v[20:21] neg_lo:[0,1] neg_hi:[0,1]
	v_pk_fma_f32 v[26:27], v[18:19], s[0:1], v[24:25] op_sel:[0,0,1] op_sel_hi:[1,0,0]
	v_pk_fma_f32 v[18:19], v[18:19], s[0:1], v[24:25] op_sel:[0,0,1] op_sel_hi:[1,0,0] neg_lo:[0,0,1] neg_hi:[0,0,1]
	v_pk_add_f32 v[20:21], v[46:47], v[20:21]
	v_mov_b32_e32 v27, v19
	v_pk_add_f32 v[18:19], v[16:17], v[26:27]
	ds_write2_b64 v160, v[18:19], v[20:21] offset0:26 offset1:39
	v_pk_add_f32 v[18:19], v[36:37], v[66:67]
	ds_write2_b64 v160, v[18:19], v[48:49] offset0:52 offset1:65
	v_pk_add_f32 v[18:19], v[22:23], v[40:41] neg_lo:[0,1] neg_hi:[0,1]
	v_pk_add_f32 v[16:17], v[16:17], v[26:27] neg_lo:[0,1] neg_hi:[0,1]
	;; [unrolled: 1-line block ×3, first 2 shown]
	ds_write2_b64 v160, v[18:19], v[16:17] offset0:78 offset1:91
	ds_write2_b64 v160, v[32:33], v[34:35] offset0:104 offset1:117
	s_waitcnt lgkmcnt(0)
	; wave barrier
	s_waitcnt lgkmcnt(0)
	ds_read2_b64 v[38:41], v56 offset1:52
	ds_read2_b64 v[50:53], v56 offset0:130 offset1:182
	ds_read2_b64 v[42:45], v57 offset0:4 offset1:56
	;; [unrolled: 1-line block ×3, first 2 shown]
	v_cmp_gt_u16_e64 s[2:3], 26, v59
	s_and_saveexec_b64 s[0:1], s[2:3]
	s_cbranch_execz .LBB0_9
; %bb.8:
	ds_read2_b64 v[32:35], v56 offset0:104 offset1:234
	ds_read2_b64 v[28:31], v57 offset0:108 offset1:238
.LBB0_9:
	s_or_b64 exec, exec, s[0:1]
	v_mad_u64_u32 v[16:17], s[0:1], v59, 24, s[6:7]
	global_load_dwordx4 v[20:23], v[16:17], off offset:936
	global_load_dwordx2 v[64:65], v[16:17], off offset:952
	global_load_dwordx4 v[24:27], v[16:17], off offset:2184
	global_load_dwordx2 v[66:67], v[16:17], off offset:2200
	v_add_u32_e32 v16, 0x68, v59
	v_subrev_u32_e32 v17, 26, v59
	v_cndmask_b32_e64 v16, v17, v16, s[2:3]
	v_mul_hi_i32_i24_e32 v17, 24, v16
	v_mul_i32_i24_e32 v16, 24, v16
	v_lshl_add_u64 v[36:37], s[6:7], 0, v[16:17]
	global_load_dwordx4 v[16:19], v[36:37], off offset:936
	global_load_dwordx2 v[62:63], v[36:37], off offset:952
	s_waitcnt vmcnt(5)
	v_mov_b32_e32 v36, v21
	s_waitcnt lgkmcnt(2)
	v_pk_mul_f32 v[54:55], v[50:51], v[20:21] op_sel:[1,0] op_sel_hi:[0,1]
	v_mov_b32_e32 v70, v23
	s_waitcnt lgkmcnt(1)
	v_pk_mul_f32 v[72:73], v[42:43], v[22:23] op_sel:[1,0] op_sel_hi:[0,1]
	s_waitcnt vmcnt(4)
	v_mov_b32_e32 v74, v65
	s_waitcnt lgkmcnt(0)
	v_pk_mul_f32 v[76:77], v[46:47], v[64:65] op_sel:[1,0] op_sel_hi:[0,1]
	s_waitcnt vmcnt(3)
	v_pk_mul_f32 v[78:79], v[52:53], v[24:25] op_sel:[0,1]
	v_mov_b32_e32 v80, v27
	s_waitcnt vmcnt(2)
	v_pk_mul_f32 v[82:83], v[48:49], v[66:67] op_sel:[0,1]
	v_pk_mul_f32 v[36:37], v[50:51], v[36:37] op_sel:[1,0] op_sel_hi:[0,1]
	v_mov_b32_e32 v55, v54
	v_pk_mul_f32 v[70:71], v[42:43], v[70:71] op_sel:[1,0] op_sel_hi:[0,1]
	v_mov_b32_e32 v73, v72
	;; [unrolled: 2-line block ×3, first 2 shown]
	v_pk_fma_f32 v[84:85], v[52:53], v[24:25], v[78:79] op_sel:[1,0,0] op_sel_hi:[0,1,1]
	v_pk_fma_f32 v[52:53], v[52:53], v[24:25], v[78:79] op_sel:[1,0,0] op_sel_hi:[0,0,1] neg_lo:[0,0,1] neg_hi:[0,0,1]
	v_pk_mul_f32 v[78:79], v[44:45], v[80:81] op_sel_hi:[1,0]
	v_pk_fma_f32 v[80:81], v[48:49], v[66:67], v[82:83] op_sel:[1,0,0] op_sel_hi:[0,1,1]
	v_pk_fma_f32 v[48:49], v[48:49], v[66:67], v[82:83] op_sel:[1,0,0] op_sel_hi:[0,0,1] neg_lo:[0,0,1] neg_hi:[0,0,1]
	v_pk_fma_f32 v[36:37], v[50:51], v[20:21], v[36:37] neg_lo:[0,0,1] neg_hi:[0,0,1]
	v_pk_fma_f32 v[50:51], v[50:51], v[20:21], v[54:55] op_sel:[1,0,0] op_sel_hi:[0,1,1]
	v_pk_fma_f32 v[54:55], v[42:43], v[22:23], v[70:71] neg_lo:[0,0,1] neg_hi:[0,0,1]
	v_pk_fma_f32 v[42:43], v[42:43], v[22:23], v[72:73] op_sel:[1,0,0] op_sel_hi:[0,1,1]
	;; [unrolled: 2-line block ×3, first 2 shown]
	v_mov_b32_e32 v85, v53
	v_pk_fma_f32 v[52:53], v[44:45], v[26:27], v[78:79] op_sel:[0,0,1] op_sel_hi:[1,1,0] neg_lo:[0,0,1] neg_hi:[0,0,1]
	v_pk_fma_f32 v[44:45], v[44:45], v[26:27], v[78:79] op_sel:[0,0,1] op_sel_hi:[1,0,0]
	v_mov_b32_e32 v81, v49
	v_mov_b32_e32 v55, v43
	;; [unrolled: 1-line block ×5, first 2 shown]
	s_waitcnt vmcnt(1)
	v_pk_mul_f32 v[42:43], v[34:35], v[16:17] op_sel_hi:[0,1]
	v_pk_mul_f32 v[44:45], v[28:29], v[18:19] op_sel:[1,0]
	s_waitcnt vmcnt(0)
	v_pk_mul_f32 v[46:47], v[30:31], v[62:63] op_sel_hi:[0,1]
	v_pk_add_f32 v[48:49], v[84:85], v[80:81] neg_lo:[0,1] neg_hi:[0,1]
	v_pk_add_f32 v[50:51], v[38:39], v[54:55] neg_lo:[0,1] neg_hi:[0,1]
	;; [unrolled: 1-line block ×3, first 2 shown]
	v_pk_fma_f32 v[70:71], v[34:35], v[16:17], v[42:43] op_sel:[1,0,1] op_sel_hi:[1,1,0]
	v_pk_fma_f32 v[34:35], v[34:35], v[16:17], v[42:43] op_sel:[1,0,1] op_sel_hi:[1,1,0] neg_lo:[1,0,0] neg_hi:[1,0,0]
	v_pk_fma_f32 v[72:73], v[28:29], v[18:19], v[44:45] op_sel:[0,0,1] op_sel_hi:[1,1,0] neg_lo:[0,0,1] neg_hi:[0,0,1]
	v_pk_fma_f32 v[28:29], v[28:29], v[18:19], v[44:45] op_sel:[0,0,1] op_sel_hi:[0,1,0]
	v_pk_fma_f32 v[44:45], v[30:31], v[62:63], v[46:47] op_sel:[1,0,1] op_sel_hi:[1,1,0]
	v_pk_fma_f32 v[30:31], v[30:31], v[62:63], v[46:47] op_sel:[1,0,1] op_sel_hi:[1,1,0] neg_lo:[1,0,0] neg_hi:[1,0,0]
	v_pk_add_f32 v[46:47], v[40:41], v[52:53] neg_lo:[0,1] neg_hi:[0,1]
	v_pk_fma_f32 v[52:53], v[84:85], 2.0, v[48:49] op_sel_hi:[1,0,1] neg_lo:[0,0,1] neg_hi:[0,0,1]
	v_pk_fma_f32 v[74:75], v[38:39], 2.0, v[50:51] op_sel_hi:[1,0,1] neg_lo:[0,0,1] neg_hi:[0,0,1]
	;; [unrolled: 1-line block ×3, first 2 shown]
	v_pk_add_f32 v[38:39], v[50:51], v[54:55] op_sel:[0,1] op_sel_hi:[1,0] neg_lo:[0,1] neg_hi:[0,1]
	v_pk_add_f32 v[54:55], v[50:51], v[54:55] op_sel:[0,1] op_sel_hi:[1,0]
	v_mov_b32_e32 v71, v35
	v_mov_b32_e32 v73, v29
	;; [unrolled: 1-line block ×3, first 2 shown]
	v_pk_fma_f32 v[34:35], v[40:41], 2.0, v[46:47] op_sel_hi:[1,0,1] neg_lo:[0,0,1] neg_hi:[0,0,1]
	v_pk_add_f32 v[42:43], v[46:47], v[48:49] neg_lo:[0,1] neg_hi:[0,1]
	v_pk_add_f32 v[28:29], v[46:47], v[48:49]
	v_mov_b32_e32 v39, v55
	v_pk_add_f32 v[40:41], v[34:35], v[52:53] op_sel:[0,1] op_sel_hi:[1,0] neg_lo:[0,1] neg_hi:[0,1]
	v_pk_add_f32 v[54:55], v[32:33], v[72:73] neg_lo:[0,1] neg_hi:[0,1]
	v_pk_add_f32 v[48:49], v[70:71], v[44:45] neg_lo:[0,1] neg_hi:[0,1]
	v_pk_fma_f32 v[30:31], v[50:51], 2.0, v[38:39] op_sel_hi:[1,0,1] neg_lo:[0,0,1] neg_hi:[0,0,1]
	v_pk_fma_f32 v[44:45], v[34:35], 2.0, v[40:41] op_sel_hi:[1,0,1] neg_lo:[0,0,1] neg_hi:[0,0,1]
	;; [unrolled: 1-line block ×4, first 2 shown]
	v_pk_add_f32 v[50:51], v[54:55], v[48:49] neg_lo:[0,1] neg_hi:[0,1]
	v_pk_add_f32 v[52:53], v[54:55], v[48:49]
	v_pk_add_f32 v[36:37], v[74:75], v[36:37] neg_lo:[0,1] neg_hi:[0,1]
	v_mov_b32_e32 v43, v29
	v_pk_add_f32 v[48:49], v[32:33], v[34:35] op_sel:[0,1] op_sel_hi:[1,0] neg_lo:[0,1] neg_hi:[0,1]
	v_mov_b32_e32 v51, v53
	v_pk_fma_f32 v[28:29], v[74:75], 2.0, v[36:37] op_sel_hi:[1,0,1] neg_lo:[0,0,1] neg_hi:[0,0,1]
	v_pk_fma_f32 v[46:47], v[46:47], 2.0, v[42:43] op_sel_hi:[1,0,1] neg_lo:[0,0,1] neg_hi:[0,0,1]
	;; [unrolled: 1-line block ×4, first 2 shown]
	ds_write2_b64 v56, v[28:29], v[44:45] offset1:52
	ds_write2_b64 v56, v[30:31], v[46:47] offset0:130 offset1:182
	ds_write2_b64 v57, v[36:37], v[40:41] offset0:4 offset1:56
	;; [unrolled: 1-line block ×3, first 2 shown]
	s_and_saveexec_b64 s[0:1], s[2:3]
	s_cbranch_execz .LBB0_11
; %bb.10:
	v_add_u32_e32 v32, 0x800, v56
	ds_write2_b64 v56, v[52:53], v[54:55] offset0:104 offset1:234
	ds_write2_b64 v32, v[48:49], v[50:51] offset0:108 offset1:238
.LBB0_11:
	s_or_b64 exec, exec, s[0:1]
	s_waitcnt lgkmcnt(0)
	; wave barrier
	s_waitcnt lgkmcnt(0)
	s_and_saveexec_b64 s[0:1], s[4:5]
	s_cbranch_execz .LBB0_13
; %bb.12:
	v_mov_b32_e32 v57, 0
	v_lshl_add_u64 v[32:33], s[12:13], 0, v[56:57]
	s_mov_b64 s[6:7], 0x1040
	v_lshl_add_u64 v[70:71], v[32:33], 0, s[6:7]
	v_add_co_u32_e32 v32, vcc, 0x1000, v32
	ds_read_b64 v[34:35], v56
	s_nop 0
	v_addc_co_u32_e32 v33, vcc, 0, v33, vcc
	global_load_dwordx2 v[32:33], v[32:33], off offset:64
	s_waitcnt vmcnt(0) lgkmcnt(0)
	v_mul_f32_e32 v57, v35, v33
	v_mul_f32_e32 v73, v34, v33
	v_fma_f32 v72, v34, v32, -v57
	v_fmac_f32_e32 v73, v35, v32
	ds_write_b64 v56, v[72:73]
	global_load_dwordx2 v[72:73], v[70:71], off offset:320
	ds_read2_b64 v[32:35], v56 offset0:40 offset1:80
	s_waitcnt vmcnt(0) lgkmcnt(0)
	v_mul_f32_e32 v57, v33, v73
	v_mul_f32_e32 v75, v32, v73
	v_fma_f32 v74, v32, v72, -v57
	v_fmac_f32_e32 v75, v33, v72
	global_load_dwordx2 v[32:33], v[70:71], off offset:640
	s_waitcnt vmcnt(0)
	v_mul_f32_e32 v57, v35, v33
	v_mul_f32_e32 v73, v34, v33
	v_fma_f32 v72, v34, v32, -v57
	v_fmac_f32_e32 v73, v35, v32
	ds_write2_b64 v56, v[74:75], v[72:73] offset0:40 offset1:80
	global_load_dwordx2 v[72:73], v[70:71], off offset:960
	ds_read2_b64 v[32:35], v56 offset0:120 offset1:160
	s_waitcnt vmcnt(0) lgkmcnt(0)
	v_mul_f32_e32 v57, v33, v73
	v_mul_f32_e32 v75, v32, v73
	v_fma_f32 v74, v32, v72, -v57
	v_fmac_f32_e32 v75, v33, v72
	global_load_dwordx2 v[32:33], v[70:71], off offset:1280
	s_waitcnt vmcnt(0)
	v_mul_f32_e32 v57, v35, v33
	v_mul_f32_e32 v73, v34, v33
	v_fma_f32 v72, v34, v32, -v57
	v_fmac_f32_e32 v73, v35, v32
	ds_write2_b64 v56, v[74:75], v[72:73] offset0:120 offset1:160
	;; [unrolled: 14-line block ×3, first 2 shown]
	global_load_dwordx2 v[72:73], v[70:71], off offset:2240
	v_add_u32_e32 v57, 0x800, v56
	ds_read2_b64 v[32:35], v57 offset0:24 offset1:64
	s_waitcnt vmcnt(0) lgkmcnt(0)
	v_mul_f32_e32 v74, v33, v73
	v_mul_f32_e32 v75, v32, v73
	v_fma_f32 v74, v32, v72, -v74
	v_fmac_f32_e32 v75, v33, v72
	global_load_dwordx2 v[32:33], v[70:71], off offset:2560
	s_waitcnt vmcnt(0)
	v_mul_f32_e32 v72, v35, v33
	v_mul_f32_e32 v73, v34, v33
	v_fma_f32 v72, v34, v32, -v72
	v_fmac_f32_e32 v73, v35, v32
	ds_write2_b64 v57, v[74:75], v[72:73] offset0:24 offset1:64
	global_load_dwordx2 v[72:73], v[70:71], off offset:2880
	ds_read2_b64 v[32:35], v57 offset0:104 offset1:144
	s_waitcnt vmcnt(0) lgkmcnt(0)
	v_mul_f32_e32 v74, v33, v73
	v_mul_f32_e32 v75, v32, v73
	v_fma_f32 v74, v32, v72, -v74
	v_fmac_f32_e32 v75, v33, v72
	global_load_dwordx2 v[32:33], v[70:71], off offset:3200
	s_waitcnt vmcnt(0)
	v_mul_f32_e32 v72, v35, v33
	v_mul_f32_e32 v73, v34, v33
	v_fma_f32 v72, v34, v32, -v72
	v_fmac_f32_e32 v73, v35, v32
	ds_write2_b64 v57, v[74:75], v[72:73] offset0:104 offset1:144
	global_load_dwordx2 v[72:73], v[70:71], off offset:3520
	ds_read2_b64 v[32:35], v57 offset0:184 offset1:224
	s_waitcnt vmcnt(0) lgkmcnt(0)
	v_mul_f32_e32 v74, v33, v73
	v_mul_f32_e32 v75, v32, v73
	v_fma_f32 v74, v32, v72, -v74
	v_fmac_f32_e32 v75, v33, v72
	global_load_dwordx2 v[32:33], v[70:71], off offset:3840
	s_waitcnt vmcnt(0)
	v_mul_f32_e32 v70, v35, v33
	v_mul_f32_e32 v71, v34, v33
	v_fma_f32 v70, v34, v32, -v70
	v_fmac_f32_e32 v71, v35, v32
	ds_write2_b64 v57, v[74:75], v[70:71] offset0:184 offset1:224
.LBB0_13:
	s_or_b64 exec, exec, s[0:1]
	s_waitcnt lgkmcnt(0)
	; wave barrier
	s_waitcnt lgkmcnt(0)
	s_and_saveexec_b64 s[0:1], s[4:5]
	s_cbranch_execz .LBB0_15
; %bb.14:
	v_add_u32_e32 v32, 0x400, v56
	ds_read2_b64 v[28:31], v56 offset1:40
	ds_read2_b64 v[36:39], v56 offset0:80 offset1:120
	ds_read2_b64 v[44:47], v56 offset0:160 offset1:200
	;; [unrolled: 1-line block ×3, first 2 shown]
	v_add_u32_e32 v32, 0x800, v56
	ds_read2_b64 v[52:55], v32 offset0:64 offset1:104
	ds_read2_b64 v[48:51], v32 offset0:144 offset1:184
	ds_read_b64 v[68:69], v56 offset:3840
.LBB0_15:
	s_or_b64 exec, exec, s[0:1]
	s_waitcnt lgkmcnt(0)
	v_pk_add_f32 v[32:33], v[30:31], v[68:69] neg_lo:[0,1] neg_hi:[0,1]
	v_pk_add_f32 v[110:111], v[30:31], v[68:69]
	v_mov_b32_e32 v71, v32
	v_mov_b32_e32 v70, v110
	v_mov_b32_e32 v110, v33
	v_pk_add_f32 v[32:33], v[36:37], v[50:51] neg_lo:[0,1] neg_hi:[0,1]
	v_pk_add_f32 v[108:109], v[36:37], v[50:51]
	v_mov_b32_e32 v73, v32
	v_mov_b32_e32 v72, v108
	v_mov_b32_e32 v108, v33
	;; [unrolled: 5-line block ×3, first 2 shown]
	v_pk_add_f32 v[32:33], v[44:45], v[54:55] neg_lo:[0,1] neg_hi:[0,1]
	v_pk_add_f32 v[104:105], v[44:45], v[54:55]
	s_mov_b32 s38, 0xbf52af12
	v_mov_b32_e32 v76, v104
	v_mov_b32_e32 v77, v32
	;; [unrolled: 1-line block ×3, first 2 shown]
	v_pk_add_f32 v[32:33], v[46:47], v[52:53] neg_lo:[0,1] neg_hi:[0,1]
	v_pk_add_f32 v[102:103], v[46:47], v[52:53]
	s_mov_b32 s39, 0x3f116cb1
	s_mov_b32 s28, 0xbf6f5d39
	v_mov_b32_e32 v78, v102
	v_mov_b32_e32 v79, v32
	;; [unrolled: 1-line block ×3, first 2 shown]
	v_pk_add_f32 v[32:33], v[40:41], v[42:43] neg_lo:[0,1] neg_hi:[0,1]
	v_pk_add_f32 v[100:101], v[40:41], v[42:43]
	v_pk_mul_f32 v[112:113], v[110:111], s[38:39]
	s_mov_b32 s0, s39
	s_mov_b32 s1, s38
	;; [unrolled: 1-line block ×3, first 2 shown]
	v_mov_b32_e32 v80, v100
	v_mov_b32_e32 v81, v32
	;; [unrolled: 1-line block ×3, first 2 shown]
	v_pk_fma_f32 v[32:33], v[70:71], s[0:1], v[112:113] neg_lo:[0,0,1] neg_hi:[0,0,1]
	v_pk_fma_f32 v[114:115], v[70:71], s[0:1], v[112:113]
	v_pk_mul_f32 v[116:117], v[108:109], s[28:29]
	s_mov_b32 s6, s29
	s_mov_b32 s7, s28
	;; [unrolled: 1-line block ×3, first 2 shown]
	v_mov_b32_e32 v33, v115
	v_pk_fma_f32 v[34:35], v[72:73], s[6:7], v[116:117] neg_lo:[0,0,1] neg_hi:[0,0,1]
	v_pk_fma_f32 v[118:119], v[72:73], s[6:7], v[116:117]
	s_mov_b32 s37, 0xbf788fa5
	v_pk_add_f32 v[32:33], v[28:29], v[32:33]
	v_mov_b32_e32 v35, v119
	v_pk_mul_f32 v[120:121], v[106:107], s[36:37]
	s_mov_b32 s16, s37
	s_mov_b32 s17, s36
	s_mov_b32 s46, 0x3f29c268
	v_pk_add_f32 v[32:33], v[34:35], v[32:33]
	v_pk_fma_f32 v[34:35], v[74:75], s[16:17], v[120:121] neg_lo:[0,0,1] neg_hi:[0,0,1]
	v_pk_fma_f32 v[122:123], v[74:75], s[16:17], v[120:121]
	s_mov_b32 s47, 0xbf3f9e67
	v_mov_b32_e32 v35, v123
	v_pk_mul_f32 v[124:125], v[104:105], s[46:47]
	s_mov_b32 s20, s47
	s_mov_b32 s21, s46
	s_mov_b32 s34, 0x3f7e222b
	v_pk_add_f32 v[32:33], v[34:35], v[32:33]
	v_pk_fma_f32 v[34:35], v[76:77], s[20:21], v[124:125] neg_lo:[0,0,1] neg_hi:[0,0,1]
	v_pk_fma_f32 v[126:127], v[76:77], s[20:21], v[124:125]
	s_mov_b32 s35, 0x3df6dbef
	;; [unrolled: 9-line block ×3, first 2 shown]
	v_mov_b32_e32 v35, v131
	v_pk_mul_f32 v[132:133], v[100:101], s[42:43]
	s_mov_b32 s22, s43
	s_mov_b32 s23, s42
	v_pk_add_f32 v[32:33], v[34:35], v[32:33]
	v_pk_fma_f32 v[34:35], v[80:81], s[22:23], v[132:133] neg_lo:[0,0,1] neg_hi:[0,0,1]
	v_pk_fma_f32 v[134:135], v[80:81], s[22:23], v[132:133]
	s_mov_b32 s48, 0xbf7e222b
	s_mov_b32 s49, s35
	v_mov_b32_e32 v35, v135
	v_pk_mul_f32 v[136:137], v[110:111], s[48:49]
	s_mov_b32 s18, s35
	s_mov_b32 s19, s48
	v_pk_add_f32 v[34:35], v[34:35], v[32:33]
	v_pk_fma_f32 v[32:33], v[70:71], s[18:19], v[136:137] neg_lo:[0,0,1] neg_hi:[0,0,1]
	v_pk_fma_f32 v[138:139], v[70:71], s[18:19], v[136:137]
	v_pk_mul_f32 v[142:143], v[108:109], s[36:37]
	v_mov_b32_e32 v33, v139
	v_pk_fma_f32 v[82:83], v[72:73], s[16:17], v[142:143] neg_lo:[0,0,1] neg_hi:[0,0,1]
	v_pk_fma_f32 v[140:141], v[72:73], s[16:17], v[142:143]
	s_mov_b32 s24, 0x3f6f5d39
	s_mov_b32 s25, s29
	v_pk_add_f32 v[32:33], v[28:29], v[32:33]
	v_mov_b32_e32 v83, v141
	v_pk_mul_f32 v[144:145], v[106:107], s[24:25]
	s_mov_b32 s40, s29
	s_mov_b32 s41, s24
	v_pk_add_f32 v[32:33], v[82:83], v[32:33]
	v_pk_fma_f32 v[82:83], v[74:75], s[40:41], v[144:145] neg_lo:[0,0,1] neg_hi:[0,0,1]
	v_pk_fma_f32 v[146:147], v[74:75], s[40:41], v[144:145]
	v_pk_mul_f32 v[150:151], v[104:105], s[42:43]
	v_mov_b32_e32 v83, v147
	v_pk_add_f32 v[32:33], v[82:83], v[32:33]
	v_pk_fma_f32 v[82:83], v[76:77], s[22:23], v[150:151] neg_lo:[0,0,1] neg_hi:[0,0,1]
	v_pk_fma_f32 v[148:149], v[76:77], s[22:23], v[150:151]
	v_pk_mul_f32 v[154:155], v[102:103], s[38:39]
	v_mov_b32_e32 v83, v149
	v_pk_add_f32 v[32:33], v[82:83], v[32:33]
	v_pk_fma_f32 v[82:83], v[78:79], s[0:1], v[154:155] neg_lo:[0,0,1] neg_hi:[0,0,1]
	v_pk_fma_f32 v[152:153], v[78:79], s[0:1], v[154:155]
	s_mov_b32 s44, 0xbf29c268
	s_mov_b32 s45, s47
	v_mov_b32_e32 v83, v153
	v_pk_mul_f32 v[156:157], v[100:101], s[44:45]
	s_mov_b32 s24, s47
	s_mov_b32 s25, s44
	v_pk_add_f32 v[32:33], v[82:83], v[32:33]
	v_pk_fma_f32 v[82:83], v[80:81], s[24:25], v[156:157] neg_lo:[0,0,1] neg_hi:[0,0,1]
	v_pk_fma_f32 v[158:159], v[80:81], s[24:25], v[156:157]
	v_mov_b32_e32 v92, v14
	v_mov_b32_e32 v83, v159
	v_pk_add_f32 v[32:33], v[82:83], v[32:33]
	v_mov_b32_e32 v82, v12
	v_mov_b32_e32 v83, v12
	;; [unrolled: 1-line block ×26, first 2 shown]
	s_waitcnt lgkmcnt(0)
	; wave barrier
	s_and_saveexec_b64 s[30:31], s[4:5]
	s_cbranch_execz .LBB0_17
; %bb.16:
	v_pk_mul_f32 v[162:163], v[70:71], s[0:1]
	v_pk_mul_f32 v[164:165], v[72:73], s[6:7]
	v_pk_add_f32 v[112:113], v[112:113], v[162:163] neg_lo:[0,1] neg_hi:[0,1]
	v_pk_mul_f32 v[166:167], v[74:75], s[16:17]
	v_mov_b32_e32 v115, v113
	v_pk_add_f32 v[112:113], v[28:29], v[114:115]
	v_pk_add_f32 v[114:115], v[116:117], v[164:165] neg_lo:[0,1] neg_hi:[0,1]
	v_pk_mul_f32 v[168:169], v[76:77], s[20:21]
	v_mov_b32_e32 v119, v115
	v_pk_add_f32 v[114:115], v[120:121], v[166:167] neg_lo:[0,1] neg_hi:[0,1]
	v_pk_mul_f32 v[170:171], v[78:79], s[26:27]
	v_mov_b32_e32 v123, v115
	;; [unrolled: 3-line block ×4, first 2 shown]
	v_pk_add_f32 v[114:115], v[132:133], v[172:173] neg_lo:[0,1] neg_hi:[0,1]
	v_pk_mul_f32 v[176:177], v[72:73], s[16:17]
	v_pk_add_f32 v[30:31], v[30:31], v[28:29]
	v_mov_b32_e32 v135, v115
	v_pk_add_f32 v[114:115], v[136:137], v[174:175] neg_lo:[0,1] neg_hi:[0,1]
	v_pk_mul_f32 v[178:179], v[74:75], s[40:41]
	v_pk_add_f32 v[30:31], v[36:37], v[30:31]
	v_mov_b32_e32 v139, v115
	v_pk_add_f32 v[116:117], v[142:143], v[176:177] neg_lo:[0,1] neg_hi:[0,1]
	v_pk_mul_f32 v[180:181], v[76:77], s[22:23]
	v_pk_add_f32 v[30:31], v[38:39], v[30:31]
	v_pk_add_f32 v[114:115], v[28:29], v[138:139]
	v_mov_b32_e32 v141, v117
	v_pk_add_f32 v[116:117], v[144:145], v[178:179] neg_lo:[0,1] neg_hi:[0,1]
	v_pk_mul_f32 v[182:183], v[78:79], s[0:1]
	v_pk_add_f32 v[30:31], v[44:45], v[30:31]
	v_pk_add_f32 v[112:113], v[118:119], v[112:113]
	;; [unrolled: 1-line block ×3, first 2 shown]
	v_mov_b32_e32 v147, v117
	v_pk_add_f32 v[116:117], v[150:151], v[180:181] neg_lo:[0,1] neg_hi:[0,1]
	v_pk_mul_f32 v[184:185], v[80:81], s[24:25]
	v_pk_add_f32 v[30:31], v[46:47], v[30:31]
	v_pk_add_f32 v[112:113], v[122:123], v[112:113]
	;; [unrolled: 1-line block ×3, first 2 shown]
	v_mov_b32_e32 v149, v117
	v_pk_add_f32 v[116:117], v[154:155], v[182:183] neg_lo:[0,1] neg_hi:[0,1]
	v_pk_add_f32 v[30:31], v[40:41], v[30:31]
	v_pk_add_f32 v[112:113], v[126:127], v[112:113]
	;; [unrolled: 1-line block ×3, first 2 shown]
	v_mov_b32_e32 v153, v117
	v_pk_add_f32 v[116:117], v[156:157], v[184:185] neg_lo:[0,1] neg_hi:[0,1]
	v_pk_add_f32 v[30:31], v[42:43], v[30:31]
	v_pk_add_f32 v[112:113], v[130:131], v[112:113]
	;; [unrolled: 1-line block ×3, first 2 shown]
	v_mov_b32_e32 v159, v117
	v_lshlrev_b32_e32 v57, 3, v161
	v_pk_add_f32 v[30:31], v[52:53], v[30:31]
	v_pk_add_f32 v[112:113], v[134:135], v[112:113]
	v_pk_add_f32 v[114:115], v[158:159], v[114:115]
	v_pk_add_f32 v[30:31], v[54:55], v[30:31]
	s_mov_b32 s41, 0xbeedf032
	ds_write2_b64 v57, v[112:113], v[114:115] offset0:2 offset1:3
	v_pk_mul_f32 v[112:113], v[110:111], s[28:29]
	v_pk_add_f32 v[30:31], v[48:49], v[30:31]
	s_mov_b32 s50, s41
	s_mov_b32 s51, s43
	v_pk_mul_f32 v[114:115], v[108:109], s[46:47]
	v_pk_fma_f32 v[124:125], v[70:71], s[6:7], v[112:113]
	v_pk_fma_f32 v[126:127], v[70:71], s[6:7], v[112:113] neg_lo:[1,0,0] neg_hi:[1,0,0]
	v_pk_add_f32 v[30:31], v[50:51], v[30:31]
	s_mov_b32 s40, s43
	v_pk_mul_f32 v[36:37], v[110:111], s[50:51]
	v_mov_b32_e32 v126, v124
	v_pk_fma_f32 v[128:129], v[72:73], s[20:21], v[114:115]
	v_pk_fma_f32 v[130:131], v[72:73], s[20:21], v[114:115] neg_lo:[1,0,0] neg_hi:[1,0,0]
	v_pk_add_f32 v[186:187], v[68:69], v[30:31]
	v_pk_fma_f32 v[30:31], v[70:71], s[40:41], v[36:37]
	v_pk_fma_f32 v[38:39], v[70:71], s[40:41], v[36:37] neg_lo:[1,0,0] neg_hi:[1,0,0]
	v_pk_mul_f32 v[116:117], v[106:107], s[42:43]
	v_pk_add_f32 v[126:127], v[28:29], v[126:127]
	v_mov_b32_e32 v130, v128
	v_mov_b32_e32 v38, v30
	v_pk_mul_f32 v[40:41], v[108:109], s[38:39]
	v_pk_add_f32 v[126:127], v[130:131], v[126:127]
	v_pk_fma_f32 v[130:131], v[74:75], s[22:23], v[116:117]
	v_pk_fma_f32 v[132:133], v[74:75], s[22:23], v[116:117] neg_lo:[1,0,0] neg_hi:[1,0,0]
	v_pk_add_f32 v[42:43], v[28:29], v[38:39]
	v_pk_fma_f32 v[38:39], v[72:73], s[0:1], v[40:41]
	v_pk_fma_f32 v[44:45], v[72:73], s[0:1], v[40:41] neg_lo:[1,0,0] neg_hi:[1,0,0]
	v_pk_mul_f32 v[118:119], v[104:105], s[48:49]
	s_mov_b32 s47, 0x3e750f2a
	v_mov_b32_e32 v132, v130
	v_mov_b32_e32 v44, v38
	s_mov_b32 s50, s47
	s_mov_b32 s51, s37
	v_pk_add_f32 v[126:127], v[132:133], v[126:127]
	v_pk_fma_f32 v[132:133], v[76:77], s[18:19], v[118:119]
	v_pk_fma_f32 v[134:135], v[76:77], s[18:19], v[118:119] neg_lo:[1,0,0] neg_hi:[1,0,0]
	v_pk_add_f32 v[46:47], v[44:45], v[42:43]
	v_pk_mul_f32 v[44:45], v[106:107], s[48:49]
	s_mov_b32 s46, s37
	v_pk_mul_f32 v[120:121], v[102:103], s[50:51]
	s_mov_b32 s49, 0x3f52af12
	v_mov_b32_e32 v134, v132
	s_mov_b32 s52, s49
	s_mov_b32 s53, s39
	v_pk_add_f32 v[126:127], v[134:135], v[126:127]
	v_pk_fma_f32 v[134:135], v[78:79], s[46:47], v[120:121]
	v_pk_fma_f32 v[136:137], v[78:79], s[46:47], v[120:121] neg_lo:[1,0,0] neg_hi:[1,0,0]
	s_mov_b32 s48, s39
	v_pk_mul_f32 v[122:123], v[100:101], s[52:53]
	v_mov_b32_e32 v136, v134
	v_pk_add_f32 v[126:127], v[136:137], v[126:127]
	v_pk_fma_f32 v[136:137], v[80:81], s[48:49], v[122:123]
	v_pk_fma_f32 v[138:139], v[80:81], s[48:49], v[122:123] neg_lo:[1,0,0] neg_hi:[1,0,0]
	v_pk_mul_f32 v[140:141], v[108:109], s[34:35]
	v_mov_b32_e32 v138, v136
	v_pk_add_f32 v[126:127], v[138:139], v[126:127]
	v_pk_mul_f32 v[138:139], v[110:111], s[44:45]
	v_pk_fma_f32 v[154:155], v[72:73], s[26:27], v[140:141]
	v_pk_fma_f32 v[150:151], v[70:71], s[24:25], v[138:139]
	v_pk_fma_f32 v[152:153], v[70:71], s[24:25], v[138:139] neg_lo:[1,0,0] neg_hi:[1,0,0]
	v_pk_fma_f32 v[156:157], v[72:73], s[26:27], v[140:141] neg_lo:[1,0,0] neg_hi:[1,0,0]
	v_mov_b32_e32 v152, v150
	v_pk_mul_f32 v[142:143], v[106:107], s[38:39]
	v_pk_add_f32 v[152:153], v[28:29], v[152:153]
	v_mov_b32_e32 v156, v154
	v_pk_add_f32 v[152:153], v[156:157], v[152:153]
	v_pk_fma_f32 v[156:157], v[74:75], s[0:1], v[142:143]
	v_pk_fma_f32 v[158:159], v[74:75], s[0:1], v[142:143] neg_lo:[1,0,0] neg_hi:[1,0,0]
	v_pk_mul_f32 v[144:145], v[104:105], s[50:51]
	v_mov_b32_e32 v158, v156
	v_pk_add_f32 v[152:153], v[158:159], v[152:153]
	v_pk_fma_f32 v[158:159], v[76:77], s[46:47], v[144:145]
	v_pk_fma_f32 v[162:163], v[76:77], s[46:47], v[144:145] neg_lo:[1,0,0] neg_hi:[1,0,0]
	v_pk_mul_f32 v[146:147], v[102:103], s[42:43]
	;; [unrolled: 5-line block ×4, first 2 shown]
	v_mov_b32_e32 v166, v164
	v_pk_add_f32 v[152:153], v[166:167], v[152:153]
	v_pk_fma_f32 v[42:43], v[74:75], s[18:19], v[44:45]
	v_pk_fma_f32 v[48:49], v[74:75], s[18:19], v[44:45] neg_lo:[1,0,0] neg_hi:[1,0,0]
	ds_write2_b64 v57, v[126:127], v[152:153] offset0:4 offset1:5
	v_pk_fma_f32 v[126:127], v[70:71], s[16:17], v[110:111]
	v_pk_fma_f32 v[152:153], v[70:71], s[16:17], v[110:111] neg_lo:[1,0,0] neg_hi:[1,0,0]
	v_pk_mul_f32 v[108:109], v[108:109], s[42:43]
	v_mov_b32_e32 v48, v42
	v_mov_b32_e32 v152, v126
	v_pk_fma_f32 v[166:167], v[72:73], s[22:23], v[108:109]
	v_pk_fma_f32 v[168:169], v[72:73], s[22:23], v[108:109] neg_lo:[1,0,0] neg_hi:[1,0,0]
	v_pk_add_f32 v[50:51], v[48:49], v[46:47]
	v_pk_mul_f32 v[48:49], v[104:105], s[28:29]
	v_pk_add_f32 v[152:153], v[28:29], v[152:153]
	v_mov_b32_e32 v168, v166
	v_pk_mul_f32 v[106:107], v[106:107], s[44:45]
	v_pk_fma_f32 v[46:47], v[76:77], s[6:7], v[48:49]
	v_pk_fma_f32 v[52:53], v[76:77], s[6:7], v[48:49] neg_lo:[1,0,0] neg_hi:[1,0,0]
	v_pk_add_f32 v[152:153], v[168:169], v[152:153]
	v_pk_fma_f32 v[168:169], v[74:75], s[24:25], v[106:107]
	v_pk_fma_f32 v[170:171], v[74:75], s[24:25], v[106:107] neg_lo:[1,0,0] neg_hi:[1,0,0]
	v_mov_b32_e32 v52, v46
	v_mov_b32_e32 v170, v168
	v_pk_mul_f32 v[104:105], v[104:105], s[52:53]
	v_pk_fma_f32 v[110:111], v[70:71], s[16:17], v[110:111] neg_lo:[0,0,1] neg_hi:[0,0,1]
	v_pk_add_f32 v[54:55], v[52:53], v[50:51]
	v_pk_mul_f32 v[52:53], v[102:103], s[44:45]
	v_pk_add_f32 v[152:153], v[170:171], v[152:153]
	v_pk_fma_f32 v[170:171], v[76:77], s[48:49], v[104:105]
	v_pk_fma_f32 v[172:173], v[76:77], s[48:49], v[104:105] neg_lo:[1,0,0] neg_hi:[1,0,0]
	v_mov_b32_e32 v111, v127
	v_pk_fma_f32 v[108:109], v[72:73], s[22:23], v[108:109] neg_lo:[0,0,1] neg_hi:[0,0,1]
	v_pk_fma_f32 v[50:51], v[78:79], s[24:25], v[52:53]
	v_pk_fma_f32 v[68:69], v[78:79], s[24:25], v[52:53] neg_lo:[1,0,0] neg_hi:[1,0,0]
	v_mov_b32_e32 v172, v170
	v_pk_mul_f32 v[102:103], v[102:103], s[28:29]
	v_pk_add_f32 v[110:111], v[28:29], v[110:111]
	v_mov_b32_e32 v109, v167
	v_pk_fma_f32 v[106:107], v[74:75], s[24:25], v[106:107] neg_lo:[0,0,1] neg_hi:[0,0,1]
	v_mov_b32_e32 v68, v50
	v_pk_add_f32 v[152:153], v[172:173], v[152:153]
	v_pk_fma_f32 v[172:173], v[78:79], s[6:7], v[102:103]
	v_pk_fma_f32 v[174:175], v[78:79], s[6:7], v[102:103] neg_lo:[1,0,0] neg_hi:[1,0,0]
	v_pk_add_f32 v[108:109], v[108:109], v[110:111]
	v_mov_b32_e32 v107, v169
	v_pk_fma_f32 v[104:105], v[76:77], s[48:49], v[104:105] neg_lo:[0,0,1] neg_hi:[0,0,1]
	v_pk_add_f32 v[188:189], v[68:69], v[54:55]
	v_pk_mul_f32 v[68:69], v[100:101], s[36:37]
	v_mov_b32_e32 v174, v172
	v_pk_mul_f32 v[100:101], v[100:101], s[34:35]
	v_pk_add_f32 v[106:107], v[106:107], v[108:109]
	v_mov_b32_e32 v105, v171
	v_pk_fma_f32 v[102:103], v[78:79], s[6:7], v[102:103] neg_lo:[0,0,1] neg_hi:[0,0,1]
	v_pk_add_f32 v[152:153], v[174:175], v[152:153]
	v_pk_fma_f32 v[174:175], v[80:81], s[26:27], v[100:101]
	v_pk_fma_f32 v[176:177], v[80:81], s[26:27], v[100:101] neg_lo:[1,0,0] neg_hi:[1,0,0]
	v_pk_add_f32 v[104:105], v[104:105], v[106:107]
	v_mov_b32_e32 v103, v173
	v_pk_fma_f32 v[100:101], v[80:81], s[26:27], v[100:101] neg_lo:[0,0,1] neg_hi:[0,0,1]
	v_mov_b32_e32 v176, v174
	v_pk_add_f32 v[102:103], v[102:103], v[104:105]
	v_mov_b32_e32 v101, v175
	v_pk_add_f32 v[152:153], v[176:177], v[152:153]
	v_pk_add_f32 v[100:101], v[100:101], v[102:103]
	ds_write2_b64 v57, v[152:153], v[100:101] offset0:6 offset1:7
	v_pk_fma_f32 v[100:101], v[70:71], s[24:25], v[138:139] neg_lo:[0,0,1] neg_hi:[0,0,1]
	v_pk_fma_f32 v[102:103], v[72:73], s[26:27], v[140:141] neg_lo:[0,0,1] neg_hi:[0,0,1]
	v_mov_b32_e32 v101, v151
	v_pk_add_f32 v[100:101], v[28:29], v[100:101]
	v_mov_b32_e32 v103, v155
	v_pk_add_f32 v[100:101], v[102:103], v[100:101]
	v_pk_fma_f32 v[102:103], v[74:75], s[0:1], v[142:143] neg_lo:[0,0,1] neg_hi:[0,0,1]
	v_pk_fma_f32 v[36:37], v[70:71], s[40:41], v[36:37] neg_lo:[0,0,1] neg_hi:[0,0,1]
	v_mov_b32_e32 v103, v157
	v_pk_add_f32 v[100:101], v[102:103], v[100:101]
	v_pk_fma_f32 v[102:103], v[76:77], s[46:47], v[144:145] neg_lo:[0,0,1] neg_hi:[0,0,1]
	v_pk_fma_f32 v[104:105], v[72:73], s[20:21], v[114:115] neg_lo:[0,0,1] neg_hi:[0,0,1]
	v_mov_b32_e32 v103, v159
	v_pk_add_f32 v[100:101], v[102:103], v[100:101]
	v_pk_fma_f32 v[102:103], v[78:79], s[22:23], v[146:147] neg_lo:[0,0,1] neg_hi:[0,0,1]
	v_mov_b32_e32 v37, v31
	v_mov_b32_e32 v103, v163
	v_pk_add_f32 v[100:101], v[102:103], v[100:101]
	v_pk_fma_f32 v[102:103], v[80:81], s[6:7], v[148:149] neg_lo:[0,0,1] neg_hi:[0,0,1]
	v_pk_fma_f32 v[30:31], v[72:73], s[0:1], v[40:41] neg_lo:[0,0,1] neg_hi:[0,0,1]
	v_mov_b32_e32 v103, v165
	v_pk_add_f32 v[100:101], v[102:103], v[100:101]
	v_pk_fma_f32 v[102:103], v[70:71], s[6:7], v[112:113] neg_lo:[0,0,1] neg_hi:[0,0,1]
	v_mov_b32_e32 v105, v129
	v_mov_b32_e32 v103, v125
	v_pk_add_f32 v[102:103], v[28:29], v[102:103]
	v_pk_add_f32 v[28:29], v[28:29], v[36:37]
	v_mov_b32_e32 v31, v39
	v_pk_add_f32 v[102:103], v[104:105], v[102:103]
	v_pk_fma_f32 v[104:105], v[74:75], s[22:23], v[116:117] neg_lo:[0,0,1] neg_hi:[0,0,1]
	v_pk_add_f32 v[28:29], v[30:31], v[28:29]
	v_pk_fma_f32 v[30:31], v[74:75], s[18:19], v[44:45] neg_lo:[0,0,1] neg_hi:[0,0,1]
	v_mov_b32_e32 v105, v131
	v_mov_b32_e32 v31, v43
	v_pk_add_f32 v[102:103], v[104:105], v[102:103]
	v_pk_fma_f32 v[104:105], v[76:77], s[18:19], v[118:119] neg_lo:[0,0,1] neg_hi:[0,0,1]
	v_pk_add_f32 v[28:29], v[30:31], v[28:29]
	v_pk_fma_f32 v[30:31], v[76:77], s[6:7], v[48:49] neg_lo:[0,0,1] neg_hi:[0,0,1]
	v_mov_b32_e32 v105, v133
	;; [unrolled: 6-line block ×3, first 2 shown]
	v_mov_b32_e32 v31, v51
	v_pk_fma_f32 v[54:55], v[80:81], s[16:17], v[68:69]
	v_pk_fma_f32 v[190:191], v[80:81], s[16:17], v[68:69] neg_lo:[1,0,0] neg_hi:[1,0,0]
	v_pk_add_f32 v[102:103], v[104:105], v[102:103]
	v_pk_fma_f32 v[104:105], v[80:81], s[48:49], v[122:123] neg_lo:[0,0,1] neg_hi:[0,0,1]
	v_pk_add_f32 v[28:29], v[30:31], v[28:29]
	v_pk_fma_f32 v[30:31], v[80:81], s[16:17], v[68:69] neg_lo:[0,0,1] neg_hi:[0,0,1]
	v_mov_b32_e32 v190, v54
	v_mov_b32_e32 v105, v137
	v_mov_b32_e32 v31, v55
	v_pk_add_f32 v[188:189], v[190:191], v[188:189]
	v_pk_add_f32 v[102:103], v[104:105], v[102:103]
	;; [unrolled: 1-line block ×3, first 2 shown]
	ds_write2_b64 v57, v[186:187], v[188:189] offset1:1
	ds_write2_b64 v57, v[100:101], v[102:103] offset0:8 offset1:9
	ds_write2_b64 v57, v[32:33], v[34:35] offset0:10 offset1:11
	ds_write_b64 v57, v[28:29] offset:96
.LBB0_17:
	s_or_b64 exec, exec, s[30:31]
	v_mov_b32_e32 v36, v26
	v_mov_b32_e32 v37, v26
	v_add_u32_e32 v26, 0x400, v56
	v_add_u32_e32 v42, 0x800, v56
	s_waitcnt lgkmcnt(0)
	; wave barrier
	s_waitcnt lgkmcnt(0)
	ds_read2_b64 v[28:31], v56 offset1:52
	ds_read2_b64 v[44:47], v56 offset0:104 offset1:156
	ds_read2_b64 v[48:51], v26 offset0:80 offset1:132
	ds_read2_b64 v[52:55], v42 offset0:56 offset1:108
	ds_read2_b64 v[68:71], v42 offset0:160 offset1:212
	s_mov_b32 s0, 0x3e9e377a
	s_mov_b32 s6, 0x3f737871
	s_waitcnt lgkmcnt(3)
	v_pk_mul_f32 v[14:15], v[14:15], v[44:45]
	s_waitcnt lgkmcnt(2)
	v_pk_mul_f32 v[10:11], v[10:11], v[48:49]
	;; [unrolled: 2-line block ×4, first 2 shown]
	v_pk_fma_f32 v[40:41], v[92:93], v[44:45], v[14:15] op_sel:[0,0,1] op_sel_hi:[1,1,0]
	v_pk_fma_f32 v[14:15], v[92:93], v[44:45], v[14:15] op_sel:[0,0,1] op_sel_hi:[1,1,0] neg_lo:[0,0,1] neg_hi:[0,0,1]
	v_pk_fma_f32 v[44:45], v[94:95], v[48:49], v[10:11] op_sel:[0,0,1] op_sel_hi:[1,1,0]
	v_pk_fma_f32 v[10:11], v[94:95], v[48:49], v[10:11] op_sel:[0,0,1] op_sel_hi:[1,1,0] neg_lo:[0,0,1] neg_hi:[0,0,1]
	;; [unrolled: 2-line block ×4, first 2 shown]
	v_mov_b32_e32 v41, v15
	v_mov_b32_e32 v45, v11
	;; [unrolled: 1-line block ×12, first 2 shown]
	v_pk_add_f32 v[68:69], v[44:45], v[48:49]
	v_pk_add_f32 v[76:77], v[14:15], v[2:3] neg_lo:[0,1] neg_hi:[0,1]
	v_pk_add_f32 v[78:79], v[10:11], v[6:7] neg_lo:[0,1] neg_hi:[0,1]
	;; [unrolled: 1-line block ×4, first 2 shown]
	v_pk_fma_f32 v[68:69], v[68:69], 0.5, v[28:29] op_sel_hi:[1,0,1] neg_lo:[1,0,0] neg_hi:[1,0,0]
	s_mov_b32 s16, 0x3f167918
	v_pk_add_f32 v[2:3], v[10:11], v[2:3]
	v_pk_add_f32 v[72:73], v[40:41], v[44:45] neg_lo:[0,1] neg_hi:[0,1]
	v_pk_add_f32 v[74:75], v[52:53], v[48:49] neg_lo:[0,1] neg_hi:[0,1]
	s_mov_b32 s17, 0x3f4f1bbd
	v_pk_mul_f32 v[6:7], v[2:3], s[0:1] op_sel_hi:[1,0]
	v_pk_fma_f32 v[2:3], v[76:77], s[6:7], v[68:69] op_sel_hi:[1,0,1]
	v_pk_fma_f32 v[10:11], v[76:77], s[6:7], v[68:69] op_sel_hi:[1,0,1] neg_lo:[1,0,0] neg_hi:[1,0,0]
	v_pk_add_f32 v[72:73], v[72:73], v[74:75]
	v_pk_add_f32 v[74:75], v[40:41], v[52:53]
	v_pk_fma_f32 v[10:11], v[78:79], s[16:17], v[10:11] op_sel_hi:[1,0,1] neg_lo:[1,0,0] neg_hi:[1,0,0]
	v_pk_fma_f32 v[14:15], v[78:79], s[16:17], v[2:3] op_sel_hi:[1,0,1]
	v_pk_fma_f32 v[74:75], v[74:75], 0.5, v[28:29] op_sel_hi:[1,0,1] neg_lo:[1,0,0] neg_hi:[1,0,0]
	v_mov_b32_e32 v2, v14
	v_mov_b32_e32 v3, v11
	v_pk_fma_f32 v[68:69], v[72:73], s[0:1], v[2:3] op_sel_hi:[1,0,1]
	v_pk_fma_f32 v[2:3], v[78:79], s[6:7], v[74:75] op_sel_hi:[1,0,1] neg_lo:[1,0,0] neg_hi:[1,0,0]
	v_pk_fma_f32 v[74:75], v[78:79], s[6:7], v[74:75] op_sel_hi:[1,0,1]
	v_pk_mul_f32 v[8:9], v[8:9], v[46:47]
	v_pk_fma_f32 v[74:75], v[76:77], s[16:17], v[74:75] op_sel_hi:[1,0,1] neg_lo:[1,0,0] neg_hi:[1,0,0]
	v_pk_fma_f32 v[76:77], v[76:77], s[16:17], v[2:3] op_sel_hi:[1,0,1]
	v_mov_b32_e32 v3, v75
	v_mov_b32_e32 v2, v76
	v_pk_add_f32 v[78:79], v[6:7], v[2:3] op_sel:[1,0] op_sel_hi:[0,1]
	v_pk_mul_f32 v[2:3], v[12:13], v[30:31]
	v_pk_mul_f32 v[4:5], v[4:5], v[50:51]
	;; [unrolled: 1-line block ×3, first 2 shown]
	v_pk_fma_f32 v[12:13], v[82:83], v[30:31], v[2:3] op_sel:[0,0,1] op_sel_hi:[1,1,0]
	v_pk_fma_f32 v[2:3], v[82:83], v[30:31], v[2:3] op_sel:[0,0,1] op_sel_hi:[1,1,0] neg_lo:[0,0,1] neg_hi:[0,0,1]
	v_pk_fma_f32 v[30:31], v[84:85], v[46:47], v[8:9] op_sel:[0,0,1] op_sel_hi:[1,1,0]
	v_pk_fma_f32 v[8:9], v[84:85], v[46:47], v[8:9] op_sel:[0,0,1] op_sel_hi:[1,1,0] neg_lo:[0,0,1] neg_hi:[0,0,1]
	;; [unrolled: 2-line block ×4, first 2 shown]
	v_pk_mul_f32 v[54:55], v[60:61], v[70:71]
	v_mov_b32_e32 v84, v30
	v_pk_fma_f32 v[60:61], v[90:91], v[70:71], v[54:55] op_sel:[0,0,1] op_sel_hi:[1,1,0]
	v_mov_b32_e32 v86, v46
	v_mov_b32_e32 v85, v60
	;; [unrolled: 1-line block ×3, first 2 shown]
	v_pk_add_f32 v[88:89], v[84:85], v[86:87] neg_lo:[0,1] neg_hi:[0,1]
	v_mov_b32_e32 v47, v5
	v_mov_b32_e32 v51, v1
	v_pk_fma_f32 v[54:55], v[90:91], v[70:71], v[54:55] op_sel:[0,0,1] op_sel_hi:[1,1,0] neg_lo:[0,0,1] neg_hi:[0,0,1]
	v_mov_b32_e32 v0, v89
	v_mov_b32_e32 v31, v9
	v_mov_b32_e32 v61, v55
	v_pk_add_f32 v[70:71], v[46:47], v[50:51]
	v_pk_add_f32 v[82:83], v[46:47], v[50:51] neg_lo:[0,1] neg_hi:[0,1]
	v_pk_add_f32 v[88:89], v[88:89], v[0:1]
	v_fma_f32 v2, -0.5, v70, v12
	v_pk_add_f32 v[80:81], v[30:31], v[60:61] neg_lo:[0,1] neg_hi:[0,1]
	v_mov_b32_e32 v89, v83
	s_mov_b32 s1, s16
	v_fmamk_f32 v4, v81, 0xbf737871, v2
	v_pk_mul_f32 v[88:89], v[88:89], s[0:1]
	v_fmac_f32_e32 v2, 0x3f737871, v81
	v_sub_f32_e32 v0, v4, v89
	v_add_f32_e32 v4, v88, v0
	v_add_f32_e32 v0, v89, v2
	v_pk_add_f32 v[84:85], v[86:87], v[84:85] neg_lo:[0,1] neg_hi:[0,1]
	v_add_f32_e32 v2, v88, v0
	v_mov_b32_e32 v0, v85
	v_pk_add_f32 v[88:89], v[30:31], v[60:61]
	v_mov_b32_e32 v11, v12
	v_pk_add_f32 v[84:85], v[84:85], v[0:1]
	v_fmac_f32_e32 v11, -0.5, v88
	v_mov_b32_e32 v85, v81
	v_fmamk_f32 v8, v83, 0x3f737871, v11
	v_pk_mul_f32 v[84:85], v[84:85], s[0:1]
	v_fmac_f32_e32 v11, 0xbf737871, v83
	v_sub_f32_e32 v0, v8, v85
	v_add_f32_e32 v8, v84, v0
	v_add_f32_e32 v0, v85, v11
	v_mov_b32_e32 v13, v3
	v_add_f32_e32 v14, v84, v0
	v_mov_b32_e32 v54, v9
	v_mov_b32_e32 v0, v5
	v_pk_add_f32 v[12:13], v[12:13], v[30:31]
	v_pk_add_f32 v[30:31], v[54:55], v[0:1] neg_lo:[0,1] neg_hi:[0,1]
	v_fma_f32 v11, -0.5, v71, v3
	v_mov_b32_e32 v26, v31
	v_pk_add_f32 v[30:31], v[30:31], v[26:27]
	v_pk_add_f32 v[0:1], v[0:1], v[54:55] neg_lo:[0,1] neg_hi:[0,1]
	v_mov_b32_e32 v31, v82
	v_pk_add_f32 v[12:13], v[12:13], v[46:47]
	v_fmamk_f32 v43, v80, 0x3f737871, v11
	v_pk_mul_f32 v[30:31], v[30:31], s[0:1]
	v_mov_b32_e32 v46, v1
	v_add_f32_e32 v5, v31, v43
	v_fmac_f32_e32 v11, 0xbf737871, v80
	v_pk_add_f32 v[0:1], v[0:1], v[46:47]
	v_add_f32_e32 v26, v30, v5
	v_sub_f32_e32 v5, v11, v31
	v_fmac_f32_e32 v3, -0.5, v89
	v_mov_b32_e32 v1, v80
	v_add_f32_e32 v30, v30, v5
	v_fmamk_f32 v5, v82, 0xbf737871, v3
	v_pk_mul_f32 v[0:1], v[0:1], s[0:1]
	v_fmac_f32_e32 v3, 0x3f737871, v82
	v_add_f32_e32 v5, v1, v5
	v_sub_f32_e32 v1, v3, v1
	v_add_f32_e32 v46, v0, v5
	v_add_f32_e32 v0, v0, v1
	s_mov_b32 s7, s0
	s_mov_b32 s18, 0xbe9e377a
	;; [unrolled: 1-line block ×3, first 2 shown]
	v_pk_mul_f32 v[0:1], v[0:1], s[6:7] op_sel_hi:[0,1]
	v_pk_add_f32 v[12:13], v[12:13], v[50:51]
	v_pk_fma_f32 v[50:51], v[14:15], s[18:19], v[0:1] op_sel_hi:[0,1,1] neg_lo:[0,0,1] neg_hi:[0,0,1]
	s_mov_b32 s18, 0xbf4f1bbd
	s_mov_b32 s19, s16
	v_pk_mul_f32 v[0:1], v[30:31], s[16:17] op_sel_hi:[0,1]
	v_pk_fma_f32 v[30:31], v[2:3], s[18:19], v[0:1] op_sel_hi:[0,1,1] neg_lo:[0,0,1] neg_hi:[0,0,1]
	v_pk_add_f32 v[0:1], v[28:29], v[40:41]
	v_mov_b32_e32 v11, v15
	v_pk_add_f32 v[0:1], v[0:1], v[44:45]
	s_mov_b32 s18, s17
	v_pk_mul_f32 v[14:15], v[26:27], s[16:17] op_sel_hi:[0,1]
	v_pk_add_f32 v[0:1], v[0:1], v[48:49]
	v_pk_fma_f32 v[44:45], v[4:5], s[18:19], v[14:15] neg_lo:[0,0,1] neg_hi:[0,0,1]
	v_pk_fma_f32 v[4:5], v[4:5], s[18:19], v[14:15] op_sel_hi:[0,1,1]
	v_pk_add_f32 v[12:13], v[12:13], v[60:61]
	v_pk_add_f32 v[28:29], v[0:1], v[52:53]
	v_pk_fma_f32 v[10:11], v[72:73], s[0:1], v[10:11] op_sel_hi:[1,0,1]
	v_mov_b32_e32 v45, v5
	v_pk_add_f32 v[40:41], v[28:29], v[12:13]
	v_pk_add_f32 v[4:5], v[10:11], v[44:45]
	v_mov_b32_e32 v75, v77
	s_waitcnt lgkmcnt(0)
	; wave barrier
	ds_write2_b64 v160, v[40:41], v[4:5] offset1:13
	v_pk_add_f32 v[4:5], v[6:7], v[74:75] op_sel:[1,0] op_sel_hi:[0,1]
	s_mov_b32 s1, s6
	v_pk_mul_f32 v[6:7], v[46:47], s[6:7] op_sel_hi:[0,1]
	v_pk_fma_f32 v[14:15], v[8:9], s[0:1], v[6:7] neg_lo:[0,0,1] neg_hi:[0,0,1]
	v_pk_fma_f32 v[6:7], v[8:9], s[0:1], v[6:7] op_sel_hi:[0,1,1]
	v_mov_b32_e32 v15, v7
	v_pk_add_f32 v[6:7], v[4:5], v[14:15]
	v_pk_add_f32 v[8:9], v[78:79], v[50:51]
	ds_write2_b64 v160, v[6:7], v[8:9] offset0:26 offset1:39
	v_pk_add_f32 v[6:7], v[68:69], v[30:31]
	v_pk_add_f32 v[8:9], v[28:29], v[12:13] neg_lo:[0,1] neg_hi:[0,1]
	ds_write2_b64 v160, v[6:7], v[8:9] offset0:52 offset1:65
	v_pk_add_f32 v[6:7], v[10:11], v[44:45] neg_lo:[0,1] neg_hi:[0,1]
	v_pk_add_f32 v[4:5], v[4:5], v[14:15] neg_lo:[0,1] neg_hi:[0,1]
	;; [unrolled: 1-line block ×4, first 2 shown]
	ds_write2_b64 v160, v[6:7], v[4:5] offset0:78 offset1:91
	ds_write2_b64 v160, v[0:1], v[2:3] offset0:104 offset1:117
	s_waitcnt lgkmcnt(0)
	; wave barrier
	s_waitcnt lgkmcnt(0)
	ds_read2_b64 v[4:7], v56 offset1:52
	ds_read2_b64 v[28:31], v56 offset0:130 offset1:182
	ds_read2_b64 v[12:15], v42 offset0:4 offset1:56
	;; [unrolled: 1-line block ×3, first 2 shown]
	v_mov_b32_e32 v38, v24
	v_mov_b32_e32 v39, v24
	;; [unrolled: 1-line block ×7, first 2 shown]
	s_and_saveexec_b64 s[0:1], s[2:3]
	s_cbranch_execz .LBB0_19
; %bb.18:
	ds_read2_b64 v[0:3], v56 offset0:104 offset1:234
	ds_read2_b64 v[32:35], v42 offset0:108 offset1:238
.LBB0_19:
	s_or_b64 exec, exec, s[0:1]
	s_waitcnt lgkmcnt(2)
	v_pk_mul_f32 v[44:45], v[20:21], v[28:29] op_sel:[1,0]
	s_waitcnt lgkmcnt(1)
	v_pk_mul_f32 v[46:47], v[22:23], v[12:13] op_sel:[1,0]
	v_pk_fma_f32 v[52:53], v[20:21], v[28:29], v[44:45] op_sel:[0,0,1] op_sel_hi:[1,1,0]
	v_pk_fma_f32 v[20:21], v[20:21], v[28:29], v[44:45] op_sel:[0,0,1] op_sel_hi:[0,1,0] neg_lo:[0,0,1] neg_hi:[0,0,1]
	s_waitcnt lgkmcnt(0)
	v_pk_mul_f32 v[48:49], v[64:65], v[8:9] op_sel:[1,0]
	v_mov_b32_e32 v53, v21
	v_pk_fma_f32 v[20:21], v[22:23], v[12:13], v[46:47] op_sel:[0,0,1] op_sel_hi:[1,1,0]
	v_pk_fma_f32 v[12:13], v[22:23], v[12:13], v[46:47] op_sel:[0,0,1] op_sel_hi:[0,1,0] neg_lo:[0,0,1] neg_hi:[0,0,1]
	v_mov_b32_e32 v21, v13
	v_pk_fma_f32 v[12:13], v[64:65], v[8:9], v[48:49] op_sel:[0,0,1] op_sel_hi:[1,1,0]
	v_pk_fma_f32 v[8:9], v[64:65], v[8:9], v[48:49] op_sel:[0,0,1] op_sel_hi:[0,1,0] neg_lo:[0,0,1] neg_hi:[0,0,1]
	v_mov_b32_e32 v13, v9
	v_pk_add_f32 v[8:9], v[4:5], v[20:21] neg_lo:[0,1] neg_hi:[0,1]
	v_pk_add_f32 v[12:13], v[52:53], v[12:13] neg_lo:[0,1] neg_hi:[0,1]
	v_pk_mul_f32 v[24:25], v[24:25], v[30:31]
	v_pk_fma_f32 v[20:21], v[52:53], 2.0, v[12:13] op_sel_hi:[1,0,1] neg_lo:[0,0,1] neg_hi:[0,0,1]
	v_pk_add_f32 v[22:23], v[8:9], v[12:13] op_sel:[0,1] op_sel_hi:[1,0]
	v_pk_add_f32 v[12:13], v[8:9], v[12:13] op_sel:[0,1] op_sel_hi:[1,0] neg_lo:[0,1] neg_hi:[0,1]
	v_pk_mul_f32 v[26:27], v[26:27], v[14:15]
	v_mov_b32_e32 v23, v13
	v_pk_fma_f32 v[12:13], v[38:39], v[30:31], v[24:25] op_sel:[0,0,1] op_sel_hi:[1,1,0]
	v_pk_fma_f32 v[24:25], v[38:39], v[30:31], v[24:25] op_sel:[0,0,1] op_sel_hi:[1,1,0] neg_lo:[0,0,1] neg_hi:[0,0,1]
	v_pk_mul_f32 v[50:51], v[66:67], v[10:11]
	v_mov_b32_e32 v13, v25
	v_pk_fma_f32 v[24:25], v[36:37], v[14:15], v[26:27] op_sel:[0,0,1] op_sel_hi:[1,1,0]
	v_pk_fma_f32 v[14:15], v[36:37], v[14:15], v[26:27] op_sel:[0,0,1] op_sel_hi:[1,1,0] neg_lo:[0,0,1] neg_hi:[0,0,1]
	v_pk_fma_f32 v[4:5], v[4:5], 2.0, v[8:9] op_sel_hi:[1,0,1] neg_lo:[0,0,1] neg_hi:[0,0,1]
	v_mov_b32_e32 v25, v15
	v_pk_fma_f32 v[14:15], v[40:41], v[10:11], v[50:51] op_sel:[0,0,1] op_sel_hi:[1,1,0]
	v_pk_fma_f32 v[10:11], v[40:41], v[10:11], v[50:51] op_sel:[0,0,1] op_sel_hi:[1,1,0] neg_lo:[0,0,1] neg_hi:[0,0,1]
	v_pk_add_f32 v[20:21], v[4:5], v[20:21] neg_lo:[0,1] neg_hi:[0,1]
	v_mov_b32_e32 v15, v11
	v_pk_add_f32 v[10:11], v[6:7], v[24:25] neg_lo:[0,1] neg_hi:[0,1]
	v_pk_add_f32 v[14:15], v[12:13], v[14:15] neg_lo:[0,1] neg_hi:[0,1]
	v_pk_fma_f32 v[6:7], v[6:7], 2.0, v[10:11] op_sel_hi:[1,0,1] neg_lo:[0,0,1] neg_hi:[0,0,1]
	v_pk_fma_f32 v[12:13], v[12:13], 2.0, v[14:15] op_sel_hi:[1,0,1] neg_lo:[0,0,1] neg_hi:[0,0,1]
	;; [unrolled: 1-line block ×3, first 2 shown]
	v_pk_add_f32 v[12:13], v[6:7], v[12:13] neg_lo:[0,1] neg_hi:[0,1]
	v_pk_fma_f32 v[8:9], v[8:9], 2.0, v[22:23] op_sel_hi:[1,0,1] neg_lo:[0,0,1] neg_hi:[0,0,1]
	v_pk_fma_f32 v[6:7], v[6:7], 2.0, v[12:13] op_sel_hi:[1,0,1] neg_lo:[0,0,1] neg_hi:[0,0,1]
	ds_write2_b64 v56, v[4:5], v[6:7] offset1:52
	v_pk_add_f32 v[4:5], v[10:11], v[14:15] op_sel:[0,1] op_sel_hi:[1,0]
	v_pk_add_f32 v[6:7], v[10:11], v[14:15] op_sel:[0,1] op_sel_hi:[1,0] neg_lo:[0,1] neg_hi:[0,1]
	s_nop 0
	v_mov_b32_e32 v5, v7
	v_pk_fma_f32 v[6:7], v[10:11], 2.0, v[4:5] op_sel_hi:[1,0,1] neg_lo:[0,0,1] neg_hi:[0,0,1]
	ds_write2_b64 v56, v[8:9], v[6:7] offset0:130 offset1:182
	ds_write2_b64 v42, v[20:21], v[12:13] offset0:4 offset1:56
	;; [unrolled: 1-line block ×3, first 2 shown]
	s_and_saveexec_b64 s[0:1], s[2:3]
	s_cbranch_execz .LBB0_21
; %bb.20:
	v_pk_mul_f32 v[4:5], v[18:19], v[32:33] op_sel:[0,1]
	v_pk_mul_f32 v[6:7], v[16:17], v[2:3] op_sel:[0,1]
	v_pk_fma_f32 v[10:11], v[18:19], v[32:33], v[4:5] op_sel:[0,0,1] op_sel_hi:[1,1,0]
	v_pk_fma_f32 v[4:5], v[18:19], v[32:33], v[4:5] op_sel:[0,0,1] op_sel_hi:[1,0,0] neg_lo:[1,0,0] neg_hi:[1,0,0]
	v_pk_mul_f32 v[8:9], v[62:63], v[34:35] op_sel:[0,1]
	v_mov_b32_e32 v11, v5
	v_pk_add_f32 v[4:5], v[0:1], v[10:11] neg_lo:[0,1] neg_hi:[0,1]
	v_pk_fma_f32 v[10:11], v[16:17], v[2:3], v[6:7] op_sel:[0,0,1] op_sel_hi:[1,1,0]
	v_pk_fma_f32 v[2:3], v[16:17], v[2:3], v[6:7] op_sel:[0,0,1] op_sel_hi:[1,0,0] neg_lo:[1,0,0] neg_hi:[1,0,0]
	v_pk_fma_f32 v[6:7], v[62:63], v[34:35], v[8:9] op_sel:[0,0,1] op_sel_hi:[1,0,0] neg_lo:[1,0,0] neg_hi:[1,0,0]
	v_mov_b32_e32 v11, v3
	v_pk_fma_f32 v[2:3], v[62:63], v[34:35], v[8:9] op_sel:[0,0,1] op_sel_hi:[1,1,0]
	v_pk_fma_f32 v[0:1], v[0:1], 2.0, v[4:5] op_sel_hi:[1,0,1] neg_lo:[0,0,1] neg_hi:[0,0,1]
	v_mov_b32_e32 v3, v7
	v_pk_add_f32 v[2:3], v[10:11], v[2:3] neg_lo:[0,1] neg_hi:[0,1]
	s_nop 0
	v_pk_fma_f32 v[6:7], v[10:11], 2.0, v[2:3] op_sel_hi:[1,0,1] neg_lo:[0,0,1] neg_hi:[0,0,1]
	v_pk_add_f32 v[8:9], v[4:5], v[2:3] op_sel:[0,1] op_sel_hi:[1,0]
	v_pk_add_f32 v[2:3], v[4:5], v[2:3] op_sel:[0,1] op_sel_hi:[1,0] neg_lo:[0,1] neg_hi:[0,1]
	v_pk_add_f32 v[6:7], v[0:1], v[6:7] neg_lo:[0,1] neg_hi:[0,1]
	v_mov_b32_e32 v9, v3
	v_pk_fma_f32 v[0:1], v[0:1], 2.0, v[6:7] op_sel_hi:[1,0,1] neg_lo:[0,0,1] neg_hi:[0,0,1]
	v_pk_fma_f32 v[2:3], v[4:5], 2.0, v[8:9] op_sel_hi:[1,0,1] neg_lo:[0,0,1] neg_hi:[0,0,1]
	ds_write2_b64 v56, v[0:1], v[2:3] offset0:104 offset1:234
	v_add_u32_e32 v0, 0x800, v56
	ds_write2_b64 v0, v[6:7], v[8:9] offset0:108 offset1:238
.LBB0_21:
	s_or_b64 exec, exec, s[0:1]
	s_waitcnt lgkmcnt(0)
	; wave barrier
	s_waitcnt lgkmcnt(0)
	s_and_b64 exec, exec, s[4:5]
	s_cbranch_execz .LBB0_23
; %bb.22:
	global_load_dwordx2 v[8:9], v56, s[12:13]
	global_load_dwordx2 v[10:11], v56, s[12:13] offset:320
	global_load_dwordx2 v[12:13], v56, s[12:13] offset:640
	;; [unrolled: 1-line block ×4, first 2 shown]
	ds_read_b64 v[18:19], v56
	ds_read2_b64 v[0:3], v56 offset0:40 offset1:80
	ds_read2_b64 v[4:7], v56 offset0:120 offset1:160
	global_load_dwordx2 v[26:27], v56, s[12:13] offset:1600
	global_load_dwordx2 v[28:29], v56, s[12:13] offset:1920
	v_mad_u64_u32 v[22:23], s[0:1], s10, v58, 0
	v_mad_u64_u32 v[24:25], s[2:3], s8, v59, 0
	v_mov_b32_e32 v30, v23
	v_mov_b32_e32 v32, v25
	v_mad_u64_u32 v[30:31], s[4:5], s11, v58, v[30:31]
	v_mov_b32_e32 v20, s14
	v_mov_b32_e32 v21, s15
	;; [unrolled: 3-line block ×3, first 2 shown]
	v_lshl_add_u64 v[20:21], v[22:23], 3, v[20:21]
	v_mov_b32_e32 v38, 0x140
	v_lshl_add_u64 v[22:23], v[24:25], 3, v[20:21]
	s_mul_i32 s2, s9, 0x140
	v_mad_u64_u32 v[24:25], s[4:5], s8, v38, v[22:23]
	s_mov_b32 s0, 0x1f81f820
	v_add_u32_e32 v25, s2, v25
	s_mov_b32 s1, 0x3f5f81f8
	v_mad_u64_u32 v[30:31], s[4:5], s8, v38, v[24:25]
	v_add_u32_e32 v31, s2, v31
	v_mad_u64_u32 v[32:33], s[4:5], s8, v38, v[30:31]
	v_add_u32_e32 v33, s2, v33
	s_mul_i32 s3, s9, 0x280
	s_waitcnt vmcnt(6) lgkmcnt(2)
	v_mul_f32_e32 v34, v19, v9
	v_mul_f32_e32 v9, v18, v9
	v_fmac_f32_e32 v34, v18, v8
	v_fma_f32 v18, v8, v19, -v9
	global_load_dwordx2 v[8:9], v56, s[12:13] offset:2240
	s_waitcnt vmcnt(5) lgkmcnt(1)
	v_mul_f32_e32 v36, v3, v13
	v_mul_f32_e32 v13, v2, v13
	s_waitcnt vmcnt(4) lgkmcnt(0)
	v_mul_f32_e32 v37, v5, v15
	v_mul_f32_e32 v15, v4, v15
	v_fmac_f32_e32 v36, v2, v12
	v_fma_f32 v19, v12, v3, -v13
	v_fmac_f32_e32 v37, v4, v14
	v_fma_f32 v40, v14, v5, -v15
	v_cvt_f64_f32_e32 v[2:3], v18
	v_cvt_f64_f32_e32 v[12:13], v36
	;; [unrolled: 1-line block ×4, first 2 shown]
	global_load_dwordx2 v[36:37], v56, s[12:13] offset:2560
	v_mul_f32_e32 v35, v1, v11
	v_mul_f32_e32 v11, v0, v11
	v_fmac_f32_e32 v35, v0, v10
	v_fma_f32 v10, v10, v1, -v11
	v_cvt_f64_f32_e32 v[0:1], v34
	s_waitcnt vmcnt(4)
	v_mul_f32_e32 v39, v7, v17
	v_cvt_f64_f32_e32 v[4:5], v35
	v_cvt_f64_f32_e32 v[10:11], v10
	v_cvt_f64_f32_e32 v[34:35], v40
	v_mul_f64 v[0:1], v[0:1], s[0:1]
	v_mul_f64 v[2:3], v[2:3], s[0:1]
	;; [unrolled: 1-line block ×8, first 2 shown]
	v_cvt_f32_f64_e32 v0, v[0:1]
	v_cvt_f32_f64_e32 v1, v[2:3]
	v_fmac_f32_e32 v39, v6, v16
	v_cvt_f32_f64_e32 v2, v[4:5]
	v_cvt_f32_f64_e32 v3, v[10:11]
	;; [unrolled: 1-line block ×6, first 2 shown]
	global_store_dwordx2 v[22:23], v[0:1], off
	global_store_dwordx2 v[24:25], v[2:3], off
	;; [unrolled: 1-line block ×4, first 2 shown]
	v_cvt_f64_f32_e32 v[0:1], v39
	global_load_dwordx2 v[4:5], v56, s[12:13] offset:2880
	global_load_dwordx2 v[12:13], v56, s[12:13] offset:3200
	v_mul_f64 v[0:1], v[0:1], s[0:1]
	v_cvt_f32_f64_e32 v10, v[0:1]
	v_mul_f32_e32 v0, v6, v17
	v_fma_f32 v0, v16, v7, -v0
	v_cvt_f64_f32_e32 v[0:1], v0
	v_mul_f64 v[0:1], v[0:1], s[0:1]
	v_cvt_f32_f64_e32 v11, v[0:1]
	ds_read2_b64 v[0:3], v56 offset0:200 offset1:240
	v_mad_u64_u32 v[6:7], s[4:5], s8, v38, v[32:33]
	v_add_u32_e32 v7, s2, v7
	global_store_dwordx2 v[6:7], v[10:11], off
	s_waitcnt vmcnt(10) lgkmcnt(0)
	v_mul_f32_e32 v10, v1, v27
	v_fmac_f32_e32 v10, v0, v26
	v_mul_f32_e32 v0, v0, v27
	v_fma_f32 v0, v26, v1, -v0
	v_cvt_f64_f32_e32 v[10:11], v10
	v_cvt_f64_f32_e32 v[0:1], v0
	v_mul_f64 v[10:11], v[10:11], s[0:1]
	v_mul_f64 v[0:1], v[0:1], s[0:1]
	v_cvt_f32_f64_e32 v10, v[10:11]
	v_cvt_f32_f64_e32 v11, v[0:1]
	s_waitcnt vmcnt(9)
	v_mul_f32_e32 v0, v3, v29
	v_fmac_f32_e32 v0, v2, v28
	v_mad_u64_u32 v[6:7], s[4:5], s8, v38, v[6:7]
	v_cvt_f64_f32_e32 v[0:1], v0
	v_add_u32_e32 v7, s2, v7
	v_mul_f64 v[0:1], v[0:1], s[0:1]
	global_store_dwordx2 v[6:7], v[10:11], off
	global_load_dwordx2 v[10:11], v56, s[12:13] offset:3520
	v_cvt_f32_f64_e32 v14, v[0:1]
	v_mul_f32_e32 v0, v2, v29
	v_fma_f32 v0, v28, v3, -v0
	v_cvt_f64_f32_e32 v[0:1], v0
	v_mul_f64 v[0:1], v[0:1], s[0:1]
	v_mad_u64_u32 v[6:7], s[4:5], s8, v38, v[6:7]
	v_cvt_f32_f64_e32 v15, v[0:1]
	v_add_u32_e32 v7, s2, v7
	global_store_dwordx2 v[6:7], v[14:15], off
	global_load_dwordx2 v[14:15], v56, s[12:13] offset:3840
	v_add_u32_e32 v22, 0x800, v56
	ds_read2_b64 v[0:3], v22 offset0:24 offset1:64
	v_mad_u64_u32 v[6:7], s[4:5], s8, v38, v[6:7]
	v_add_u32_e32 v7, s2, v7
	v_or_b32_e32 v19, 0x140, v59
	s_waitcnt vmcnt(12) lgkmcnt(0)
	v_mul_f32_e32 v16, v1, v9
	v_fmac_f32_e32 v16, v0, v8
	v_mul_f32_e32 v0, v0, v9
	v_fma_f32 v0, v8, v1, -v0
	v_cvt_f64_f32_e32 v[16:17], v16
	v_cvt_f64_f32_e32 v[0:1], v0
	v_mul_f64 v[16:17], v[16:17], s[0:1]
	v_mul_f64 v[0:1], v[0:1], s[0:1]
	v_cvt_f32_f64_e32 v16, v[16:17]
	v_cvt_f32_f64_e32 v17, v[0:1]
	s_waitcnt vmcnt(11)
	v_mul_f32_e32 v0, v3, v37
	v_fmac_f32_e32 v0, v2, v36
	v_cvt_f64_f32_e32 v[0:1], v0
	v_mul_f64 v[0:1], v[0:1], s[0:1]
	v_cvt_f32_f64_e32 v8, v[0:1]
	v_mul_f32_e32 v0, v2, v37
	v_fma_f32 v0, v36, v3, -v0
	v_cvt_f64_f32_e32 v[0:1], v0
	v_mul_f64 v[0:1], v[0:1], s[0:1]
	global_store_dwordx2 v[6:7], v[16:17], off
	v_cvt_f32_f64_e32 v9, v[0:1]
	v_mad_u64_u32 v[16:17], s[4:5], s8, v19, 0
	ds_read2_b64 v[0:3], v22 offset0:104 offset1:144
	v_mov_b32_e32 v18, v17
	v_mad_u64_u32 v[18:19], s[4:5], s9, v19, v[18:19]
	v_mov_b32_e32 v17, v18
	v_lshl_add_u64 v[16:17], v[16:17], 3, v[20:21]
	global_store_dwordx2 v[16:17], v[8:9], off
	s_waitcnt vmcnt(8) lgkmcnt(0)
	v_mul_f32_e32 v8, v1, v5
	v_fmac_f32_e32 v8, v0, v4
	v_mul_f32_e32 v0, v0, v5
	v_fma_f32 v0, v4, v1, -v0
	v_cvt_f64_f32_e32 v[8:9], v8
	v_cvt_f64_f32_e32 v[0:1], v0
	v_mul_f64 v[8:9], v[8:9], s[0:1]
	v_mul_f64 v[0:1], v[0:1], s[0:1]
	v_cvt_f32_f64_e32 v8, v[8:9]
	v_cvt_f32_f64_e32 v9, v[0:1]
	v_mov_b32_e32 v0, 0x280
	v_mad_u64_u32 v[4:5], s[4:5], s8, v0, v[6:7]
	s_waitcnt vmcnt(7)
	v_mul_f32_e32 v0, v3, v13
	v_fmac_f32_e32 v0, v2, v12
	v_cvt_f64_f32_e32 v[0:1], v0
	v_mul_f64 v[0:1], v[0:1], s[0:1]
	v_cvt_f32_f64_e32 v6, v[0:1]
	v_mul_f32_e32 v0, v2, v13
	v_fma_f32 v0, v12, v3, -v0
	v_cvt_f64_f32_e32 v[0:1], v0
	v_mul_f64 v[0:1], v[0:1], s[0:1]
	v_cvt_f32_f64_e32 v7, v[0:1]
	ds_read2_b64 v[0:3], v22 offset0:184 offset1:224
	v_add_u32_e32 v5, s3, v5
	global_store_dwordx2 v[4:5], v[8:9], off
	v_mad_u64_u32 v[4:5], s[4:5], s8, v38, v[4:5]
	v_add_u32_e32 v5, s2, v5
	global_store_dwordx2 v[4:5], v[6:7], off
	s_waitcnt vmcnt(6) lgkmcnt(0)
	v_mul_f32_e32 v6, v1, v11
	v_fmac_f32_e32 v6, v0, v10
	v_mul_f32_e32 v0, v0, v11
	v_fma_f32 v0, v10, v1, -v0
	v_cvt_f64_f32_e32 v[6:7], v6
	v_cvt_f64_f32_e32 v[0:1], v0
	v_mul_f64 v[6:7], v[6:7], s[0:1]
	v_mul_f64 v[0:1], v[0:1], s[0:1]
	v_cvt_f32_f64_e32 v6, v[6:7]
	v_cvt_f32_f64_e32 v7, v[0:1]
	v_mad_u64_u32 v[0:1], s[4:5], s8, v38, v[4:5]
	s_waitcnt vmcnt(4)
	v_mul_f32_e32 v4, v3, v15
	v_fmac_f32_e32 v4, v2, v14
	v_mul_f32_e32 v2, v2, v15
	v_fma_f32 v2, v14, v3, -v2
	v_add_u32_e32 v1, s2, v1
	v_cvt_f64_f32_e32 v[4:5], v4
	v_cvt_f64_f32_e32 v[2:3], v2
	global_store_dwordx2 v[0:1], v[6:7], off
	v_mul_f64 v[4:5], v[4:5], s[0:1]
	v_mul_f64 v[2:3], v[2:3], s[0:1]
	v_mad_u64_u32 v[0:1], s[0:1], s8, v38, v[0:1]
	v_cvt_f32_f64_e32 v4, v[4:5]
	v_cvt_f32_f64_e32 v5, v[2:3]
	v_add_u32_e32 v1, s2, v1
	global_store_dwordx2 v[0:1], v[4:5], off
.LBB0_23:
	s_endpgm
	.section	.rodata,"a",@progbits
	.p2align	6, 0x0
	.amdhsa_kernel bluestein_single_back_len520_dim1_sp_op_CI_CI
		.amdhsa_group_segment_fixed_size 4160
		.amdhsa_private_segment_fixed_size 0
		.amdhsa_kernarg_size 104
		.amdhsa_user_sgpr_count 2
		.amdhsa_user_sgpr_dispatch_ptr 0
		.amdhsa_user_sgpr_queue_ptr 0
		.amdhsa_user_sgpr_kernarg_segment_ptr 1
		.amdhsa_user_sgpr_dispatch_id 0
		.amdhsa_user_sgpr_kernarg_preload_length 0
		.amdhsa_user_sgpr_kernarg_preload_offset 0
		.amdhsa_user_sgpr_private_segment_size 0
		.amdhsa_uses_dynamic_stack 0
		.amdhsa_enable_private_segment 0
		.amdhsa_system_sgpr_workgroup_id_x 1
		.amdhsa_system_sgpr_workgroup_id_y 0
		.amdhsa_system_sgpr_workgroup_id_z 0
		.amdhsa_system_sgpr_workgroup_info 0
		.amdhsa_system_vgpr_workitem_id 0
		.amdhsa_next_free_vgpr 192
		.amdhsa_next_free_sgpr 54
		.amdhsa_accum_offset 192
		.amdhsa_reserve_vcc 1
		.amdhsa_float_round_mode_32 0
		.amdhsa_float_round_mode_16_64 0
		.amdhsa_float_denorm_mode_32 3
		.amdhsa_float_denorm_mode_16_64 3
		.amdhsa_dx10_clamp 1
		.amdhsa_ieee_mode 1
		.amdhsa_fp16_overflow 0
		.amdhsa_tg_split 0
		.amdhsa_exception_fp_ieee_invalid_op 0
		.amdhsa_exception_fp_denorm_src 0
		.amdhsa_exception_fp_ieee_div_zero 0
		.amdhsa_exception_fp_ieee_overflow 0
		.amdhsa_exception_fp_ieee_underflow 0
		.amdhsa_exception_fp_ieee_inexact 0
		.amdhsa_exception_int_div_zero 0
	.end_amdhsa_kernel
	.text
.Lfunc_end0:
	.size	bluestein_single_back_len520_dim1_sp_op_CI_CI, .Lfunc_end0-bluestein_single_back_len520_dim1_sp_op_CI_CI
                                        ; -- End function
	.section	.AMDGPU.csdata,"",@progbits
; Kernel info:
; codeLenInByte = 12284
; NumSgprs: 60
; NumVgprs: 192
; NumAgprs: 0
; TotalNumVgprs: 192
; ScratchSize: 0
; MemoryBound: 0
; FloatMode: 240
; IeeeMode: 1
; LDSByteSize: 4160 bytes/workgroup (compile time only)
; SGPRBlocks: 7
; VGPRBlocks: 23
; NumSGPRsForWavesPerEU: 60
; NumVGPRsForWavesPerEU: 192
; AccumOffset: 192
; Occupancy: 2
; WaveLimiterHint : 1
; COMPUTE_PGM_RSRC2:SCRATCH_EN: 0
; COMPUTE_PGM_RSRC2:USER_SGPR: 2
; COMPUTE_PGM_RSRC2:TRAP_HANDLER: 0
; COMPUTE_PGM_RSRC2:TGID_X_EN: 1
; COMPUTE_PGM_RSRC2:TGID_Y_EN: 0
; COMPUTE_PGM_RSRC2:TGID_Z_EN: 0
; COMPUTE_PGM_RSRC2:TIDIG_COMP_CNT: 0
; COMPUTE_PGM_RSRC3_GFX90A:ACCUM_OFFSET: 47
; COMPUTE_PGM_RSRC3_GFX90A:TG_SPLIT: 0
	.text
	.p2alignl 6, 3212836864
	.fill 256, 4, 3212836864
	.type	__hip_cuid_4744fd418da75a19,@object ; @__hip_cuid_4744fd418da75a19
	.section	.bss,"aw",@nobits
	.globl	__hip_cuid_4744fd418da75a19
__hip_cuid_4744fd418da75a19:
	.byte	0                               ; 0x0
	.size	__hip_cuid_4744fd418da75a19, 1

	.ident	"AMD clang version 19.0.0git (https://github.com/RadeonOpenCompute/llvm-project roc-6.4.0 25133 c7fe45cf4b819c5991fe208aaa96edf142730f1d)"
	.section	".note.GNU-stack","",@progbits
	.addrsig
	.addrsig_sym __hip_cuid_4744fd418da75a19
	.amdgpu_metadata
---
amdhsa.kernels:
  - .agpr_count:     0
    .args:
      - .actual_access:  read_only
        .address_space:  global
        .offset:         0
        .size:           8
        .value_kind:     global_buffer
      - .actual_access:  read_only
        .address_space:  global
        .offset:         8
        .size:           8
        .value_kind:     global_buffer
      - .actual_access:  read_only
        .address_space:  global
        .offset:         16
        .size:           8
        .value_kind:     global_buffer
      - .actual_access:  read_only
        .address_space:  global
        .offset:         24
        .size:           8
        .value_kind:     global_buffer
      - .actual_access:  read_only
        .address_space:  global
        .offset:         32
        .size:           8
        .value_kind:     global_buffer
      - .offset:         40
        .size:           8
        .value_kind:     by_value
      - .address_space:  global
        .offset:         48
        .size:           8
        .value_kind:     global_buffer
      - .address_space:  global
        .offset:         56
        .size:           8
        .value_kind:     global_buffer
      - .address_space:  global
        .offset:         64
        .size:           8
        .value_kind:     global_buffer
      - .address_space:  global
        .offset:         72
        .size:           8
        .value_kind:     global_buffer
      - .offset:         80
        .size:           4
        .value_kind:     by_value
      - .address_space:  global
        .offset:         88
        .size:           8
        .value_kind:     global_buffer
      - .address_space:  global
        .offset:         96
        .size:           8
        .value_kind:     global_buffer
    .group_segment_fixed_size: 4160
    .kernarg_segment_align: 8
    .kernarg_segment_size: 104
    .language:       OpenCL C
    .language_version:
      - 2
      - 0
    .max_flat_workgroup_size: 52
    .name:           bluestein_single_back_len520_dim1_sp_op_CI_CI
    .private_segment_fixed_size: 0
    .sgpr_count:     60
    .sgpr_spill_count: 0
    .symbol:         bluestein_single_back_len520_dim1_sp_op_CI_CI.kd
    .uniform_work_group_size: 1
    .uses_dynamic_stack: false
    .vgpr_count:     192
    .vgpr_spill_count: 0
    .wavefront_size: 64
amdhsa.target:   amdgcn-amd-amdhsa--gfx950
amdhsa.version:
  - 1
  - 2
...

	.end_amdgpu_metadata
